;; amdgpu-corpus repo=zjin-lcf/HeCBench kind=compiled arch=gfx906 opt=O3
	.amdgcn_target "amdgcn-amd-amdhsa--gfx906"
	.amdhsa_code_object_version 6
	.text
	.protected	_Z14genScoreKerneliPfPKiPKf ; -- Begin function _Z14genScoreKerneliPfPKiPKf
	.globl	_Z14genScoreKerneliPfPKiPKf
	.p2align	8
	.type	_Z14genScoreKerneliPfPKiPKf,@function
_Z14genScoreKerneliPfPKiPKf:            ; @_Z14genScoreKerneliPfPKiPKf
; %bb.0:
	s_load_dword s33, s[4:5], 0x0
	s_add_u32 s0, s0, s7
	v_lshl_add_u32 v11, s6, 8, v0
	s_addc_u32 s1, s1, 0
	v_mov_b32_e32 v12, 0
	s_waitcnt lgkmcnt(0)
	v_cmp_gt_i32_e32 vcc, s33, v11
	buffer_store_dword v12, off, s[0:3], 0 offset:172
	buffer_store_dword v12, off, s[0:3], 0 offset:168
	;; [unrolled: 1-line block ×43, first 2 shown]
	buffer_store_dword v12, off, s[0:3], 0
	buffer_store_dword v12, off, s[0:3], 0 offset:176
	s_and_saveexec_b64 s[6:7], vcc
	s_cbranch_execz .LBB0_193
; %bb.1:
	v_mov_b32_e32 v13, -1
	v_cmp_ne_u32_e32 vcc, 0, v11
	v_mov_b32_e32 v14, v13
	v_mov_b32_e32 v15, v13
	;; [unrolled: 1-line block ×3, first 2 shown]
	s_and_saveexec_b64 s[8:9], vcc
	s_cbranch_execz .LBB0_39
; %bb.2:
	v_mov_b32_e32 v2, 0
	v_cmp_lt_i32_e32 vcc, 0, v11
	v_mov_b32_e32 v0, 1
	s_and_saveexec_b64 s[6:7], vcc
	s_cbranch_execz .LBB0_10
; %bb.3:
	s_mov_b32 s12, 0
	s_mov_b32 s13, 1
	s_mov_b64 s[10:11], 0
.LBB0_4:                                ; =>This Loop Header: Depth=1
                                        ;     Child Loop BB0_5 Depth 2
                                        ;     Child Loop BB0_7 Depth 2
	s_mov_b32 s14, 44
	s_mov_b32 s15, 1
.LBB0_5:                                ;   Parent Loop BB0_4 Depth=1
                                        ; =>  This Inner Loop Header: Depth=2
	s_mul_i32 s15, s15, s14
	s_add_i32 s14, s14, -1
	s_add_i32 s16, s13, s14
	s_cmp_lg_u32 s16, 44
	s_cbranch_scc1 .LBB0_5
; %bb.6:                                ;   in Loop: Header=BB0_4 Depth=1
	s_mov_b32 s14, s13
.LBB0_7:                                ;   Parent Loop BB0_4 Depth=1
                                        ; =>  This Inner Loop Header: Depth=2
	s_abs_i32 s17, s14
	v_cvt_f32_u32_e32 v0, s17
	s_sub_i32 s18, 0, s17
	s_xor_b32 s16, s15, s14
	s_abs_i32 s15, s15
	v_rcp_iflag_f32_e32 v0, v0
	s_ashr_i32 s16, s16, 31
	v_mul_f32_e32 v0, 0x4f7ffffe, v0
	v_cvt_u32_f32_e32 v0, v0
	v_readfirstlane_b32 s19, v0
	s_mul_i32 s18, s18, s19
	s_mul_hi_u32 s18, s19, s18
	s_add_i32 s19, s19, s18
	s_mul_hi_u32 s18, s15, s19
	s_mul_i32 s19, s18, s17
	s_sub_i32 s15, s15, s19
	s_add_i32 s20, s18, 1
	s_sub_i32 s19, s15, s17
	s_cmp_ge_u32 s15, s17
	s_cselect_b32 s18, s20, s18
	s_cselect_b32 s15, s19, s15
	s_add_i32 s19, s18, 1
	s_cmp_ge_u32 s15, s17
	s_cselect_b32 s15, s19, s18
	s_xor_b32 s15, s15, s16
	s_add_i32 s14, s14, -1
	s_sub_i32 s15, s15, s16
	s_cmp_lg_u32 s14, 0
	s_cbranch_scc1 .LBB0_7
; %bb.8:                                ;   in Loop: Header=BB0_4 Depth=1
	s_add_i32 s12, s15, s12
	s_add_i32 s13, s13, 1
	v_cmp_ge_i32_e32 vcc, s12, v11
	s_or_b64 s[10:11], vcc, s[10:11]
	v_mov_b32_e32 v0, s13
	v_mov_b32_e32 v2, s12
	s_andn2_b64 exec, exec, s[10:11]
	s_cbranch_execnz .LBB0_4
; %bb.9:
	s_or_b64 exec, exec, s[10:11]
.LBB0_10:
	s_or_b64 exec, exec, s[6:7]
	v_mov_b32_e32 v4, 1
	v_cmp_lt_u32_e32 vcc, 1, v0
	s_and_saveexec_b64 s[10:11], vcc
	s_cbranch_execz .LBB0_14
; %bb.11:
	v_sub_u32_e32 v1, 0, v0
	s_mov_b32 s14, 1
	s_mov_b32 s15, -1
	s_mov_b64 s[12:13], 0
.LBB0_12:                               ; =>This Inner Loop Header: Depth=1
	s_add_i32 s6, s15, 45
	s_add_i32 s15, s15, -1
	s_mul_i32 s14, s14, s6
	v_cmp_eq_u32_e64 s[6:7], s15, v1
	s_or_b64 s[12:13], s[6:7], s[12:13]
	v_mov_b32_e32 v4, s14
	s_andn2_b64 exec, exec, s[12:13]
	s_cbranch_execnz .LBB0_12
; %bb.13:
	s_or_b64 exec, exec, s[12:13]
.LBB0_14:
	s_or_b64 exec, exec, s[10:11]
	v_add_u32_e32 v1, -1, v0
	s_and_saveexec_b64 s[6:7], vcc
	s_cbranch_execz .LBB0_18
; %bb.15:
	s_mov_b64 s[10:11], 0
	v_mov_b32_e32 v3, v1
.LBB0_16:                               ; =>This Inner Loop Header: Depth=1
	v_sub_u32_e32 v6, 0, v4
	v_sub_u32_e32 v7, 0, v3
	v_xor_b32_e32 v5, v4, v3
	v_max_i32_e32 v4, v4, v6
	v_max_i32_e32 v6, v3, v7
	v_cvt_f32_u32_e32 v7, v6
	v_sub_u32_e32 v8, 0, v6
	v_add_u32_e32 v3, -1, v3
	v_cmp_eq_u32_e32 vcc, 0, v3
	v_rcp_iflag_f32_e32 v7, v7
	s_or_b64 s[10:11], vcc, s[10:11]
	v_ashrrev_i32_e32 v5, 31, v5
	v_mul_f32_e32 v7, 0x4f7ffffe, v7
	v_cvt_u32_f32_e32 v7, v7
	v_mul_lo_u32 v8, v8, v7
	v_mul_hi_u32 v8, v7, v8
	v_add_u32_e32 v7, v7, v8
	v_mul_hi_u32 v7, v4, v7
	v_mul_lo_u32 v8, v7, v6
	v_add_u32_e32 v9, 1, v7
	v_sub_u32_e32 v4, v4, v8
	v_cmp_ge_u32_e32 vcc, v4, v6
	v_sub_u32_e32 v8, v4, v6
	v_cndmask_b32_e32 v7, v7, v9, vcc
	v_cndmask_b32_e32 v4, v4, v8, vcc
	v_add_u32_e32 v8, 1, v7
	v_cmp_ge_u32_e32 vcc, v4, v6
	v_cndmask_b32_e32 v4, v7, v8, vcc
	v_xor_b32_e32 v4, v4, v5
	v_sub_u32_e32 v4, v4, v5
	s_andn2_b64 exec, exec, s[10:11]
	s_cbranch_execnz .LBB0_16
; %bb.17:
	s_or_b64 exec, exec, s[10:11]
.LBB0_18:
	s_or_b64 exec, exec, s[6:7]
	v_sub_u32_e32 v2, v11, v2
	v_add_u32_e32 v3, v4, v2
	v_cmp_lt_i32_e32 vcc, 2, v0
	v_mov_b32_e32 v8, 0
	v_mov_b32_e32 v7, 0
	;; [unrolled: 1-line block ×7, first 2 shown]
	s_and_saveexec_b64 s[6:7], vcc
	s_cbranch_execz .LBB0_34
; %bb.19:
	v_add_u32_e32 v2, -2, v0
	v_mov_b32_e32 v10, 44
	s_mov_b32 s18, 0
	s_mov_b64 s[10:11], 0
	v_mov_b32_e32 v9, 0
	v_mov_b32_e32 v4, 0
	;; [unrolled: 1-line block ×7, first 2 shown]
.LBB0_20:                               ; =>This Loop Header: Depth=1
                                        ;     Child Loop BB0_22 Depth 2
                                        ;       Child Loop BB0_23 Depth 3
                                        ;       Child Loop BB0_25 Depth 3
                                        ;     Child Loop BB0_29 Depth 2
                                        ;     Child Loop BB0_31 Depth 2
	v_cmp_lt_i32_e32 vcc, 0, v3
	v_add_u32_e32 v1, -1, v1
	v_mov_b32_e32 v14, 0
	v_mov_b32_e32 v13, 0
	s_and_saveexec_b64 s[12:13], vcc
	s_cbranch_execz .LBB0_28
; %bb.21:                               ;   in Loop: Header=BB0_20 Depth=1
	v_mov_b32_e32 v13, 0
	s_mov_b32 s19, 1
	s_mov_b64 s[14:15], 0
.LBB0_22:                               ;   Parent Loop BB0_20 Depth=1
                                        ; =>  This Loop Header: Depth=2
                                        ;       Child Loop BB0_23 Depth 3
                                        ;       Child Loop BB0_25 Depth 3
	v_subrev_u32_e32 v14, s19, v10
	v_mov_b32_e32 v15, 1
	s_mov_b64 s[16:17], 0
	v_mov_b32_e32 v16, v12
.LBB0_23:                               ;   Parent Loop BB0_20 Depth=1
                                        ;     Parent Loop BB0_22 Depth=2
                                        ; =>    This Inner Loop Header: Depth=3
	v_mul_lo_u32 v15, v15, v14
	v_add_u32_e32 v16, -1, v16
	v_cmp_eq_u32_e32 vcc, 0, v16
	s_or_b64 s[16:17], vcc, s[16:17]
	v_add_u32_e32 v14, -1, v14
	s_andn2_b64 exec, exec, s[16:17]
	s_cbranch_execnz .LBB0_23
; %bb.24:                               ;   in Loop: Header=BB0_22 Depth=2
	s_or_b64 exec, exec, s[16:17]
	s_mov_b64 s[16:17], 0
	v_mov_b32_e32 v14, v1
.LBB0_25:                               ;   Parent Loop BB0_20 Depth=1
                                        ;     Parent Loop BB0_22 Depth=2
                                        ; =>    This Inner Loop Header: Depth=3
	v_sub_u32_e32 v17, 0, v15
	v_sub_u32_e32 v18, 0, v14
	v_xor_b32_e32 v16, v15, v14
	v_max_i32_e32 v15, v15, v17
	v_max_i32_e32 v17, v14, v18
	v_cvt_f32_u32_e32 v18, v17
	v_sub_u32_e32 v19, 0, v17
	v_add_u32_e32 v14, -1, v14
	v_cmp_eq_u32_e32 vcc, 0, v14
	v_rcp_iflag_f32_e32 v18, v18
	s_or_b64 s[16:17], vcc, s[16:17]
	v_ashrrev_i32_e32 v16, 31, v16
	v_mul_f32_e32 v18, 0x4f7ffffe, v18
	v_cvt_u32_f32_e32 v18, v18
	v_mul_lo_u32 v19, v19, v18
	v_mul_hi_u32 v19, v18, v19
	v_add_u32_e32 v18, v18, v19
	v_mul_hi_u32 v18, v15, v18
	v_mul_lo_u32 v19, v18, v17
	v_add_u32_e32 v20, 1, v18
	v_sub_u32_e32 v15, v15, v19
	v_cmp_ge_u32_e32 vcc, v15, v17
	v_sub_u32_e32 v19, v15, v17
	v_cndmask_b32_e32 v18, v18, v20, vcc
	v_cndmask_b32_e32 v15, v15, v19, vcc
	v_add_u32_e32 v19, 1, v18
	v_cmp_ge_u32_e32 vcc, v15, v17
	v_cndmask_b32_e32 v15, v18, v19, vcc
	v_xor_b32_e32 v15, v15, v16
	v_sub_u32_e32 v15, v15, v16
	s_andn2_b64 exec, exec, s[16:17]
	s_cbranch_execnz .LBB0_25
; %bb.26:                               ;   in Loop: Header=BB0_22 Depth=2
	s_or_b64 exec, exec, s[16:17]
	v_add_u32_e32 v13, v15, v13
	s_add_i32 s16, s19, 1
	v_cmp_ge_i32_e32 vcc, v13, v3
	s_or_b64 s[14:15], vcc, s[14:15]
	v_mov_b32_e32 v14, s19
	s_mov_b32 s19, s16
	s_andn2_b64 exec, exec, s[14:15]
	s_cbranch_execnz .LBB0_22
; %bb.27:                               ;   in Loop: Header=BB0_20 Depth=1
	s_or_b64 exec, exec, s[14:15]
.LBB0_28:                               ;   in Loop: Header=BB0_20 Depth=1
	s_or_b64 exec, exec, s[12:13]
	v_sub_u32_e32 v10, v10, v14
	v_mov_b32_e32 v16, 1
	s_mov_b32 s14, 0
	s_mov_b64 s[12:13], 0
.LBB0_29:                               ;   Parent Loop BB0_20 Depth=1
                                        ; =>  This Inner Loop Header: Depth=2
	v_add_u32_e32 v15, s14, v10
	s_add_i32 s14, s14, -1
	v_mul_lo_u32 v16, v16, v15
	v_add_u32_e32 v15, s14, v12
	v_cmp_eq_u32_e32 vcc, 0, v15
	s_or_b64 s[12:13], vcc, s[12:13]
	s_andn2_b64 exec, exec, s[12:13]
	s_cbranch_execnz .LBB0_29
; %bb.30:                               ;   in Loop: Header=BB0_20 Depth=1
	s_or_b64 exec, exec, s[12:13]
	s_mov_b64 s[12:13], 0
	v_mov_b32_e32 v15, v1
.LBB0_31:                               ;   Parent Loop BB0_20 Depth=1
                                        ; =>  This Inner Loop Header: Depth=2
	v_sub_u32_e32 v18, 0, v16
	v_sub_u32_e32 v19, 0, v15
	v_xor_b32_e32 v17, v16, v15
	v_max_i32_e32 v16, v16, v18
	v_max_i32_e32 v18, v15, v19
	v_cvt_f32_u32_e32 v19, v18
	v_sub_u32_e32 v20, 0, v18
	v_add_u32_e32 v15, -1, v15
	v_cmp_eq_u32_e32 vcc, 0, v15
	v_rcp_iflag_f32_e32 v19, v19
	s_or_b64 s[12:13], vcc, s[12:13]
	v_ashrrev_i32_e32 v17, 31, v17
	v_mul_f32_e32 v19, 0x4f7ffffe, v19
	v_cvt_u32_f32_e32 v19, v19
	v_mul_lo_u32 v20, v20, v19
	v_mul_hi_u32 v20, v19, v20
	v_add_u32_e32 v19, v19, v20
	v_mul_hi_u32 v19, v16, v19
	v_mul_lo_u32 v20, v19, v18
	v_add_u32_e32 v21, 1, v19
	v_sub_u32_e32 v16, v16, v20
	v_cmp_ge_u32_e32 vcc, v16, v18
	v_sub_u32_e32 v20, v16, v18
	v_cndmask_b32_e32 v19, v19, v21, vcc
	v_cndmask_b32_e32 v16, v16, v20, vcc
	v_add_u32_e32 v20, 1, v19
	v_cmp_ge_u32_e32 vcc, v16, v18
	v_cndmask_b32_e32 v16, v19, v20, vcc
	v_xor_b32_e32 v16, v16, v17
	v_sub_u32_e32 v16, v16, v17
	s_andn2_b64 exec, exec, s[12:13]
	s_cbranch_execnz .LBB0_31
; %bb.32:                               ;   in Loop: Header=BB0_20 Depth=1
	s_or_b64 exec, exec, s[12:13]
	s_add_i32 s12, s18, 1
	s_cmp_eq_u32 s18, 0
	v_add_u32_e32 v9, v14, v9
	s_cselect_b64 vcc, -1, 0
	s_cmp_eq_u32 s18, 1
	v_cndmask_b32_e32 v4, v4, v9, vcc
	s_cselect_b64 vcc, -1, 0
	s_cmp_eq_u32 s18, 2
	v_cndmask_b32_e32 v5, v5, v9, vcc
	;; [unrolled: 3-line block ×4, first 2 shown]
	s_cselect_b64 vcc, -1, 0
	v_sub_u32_e32 v3, v3, v13
	v_cndmask_b32_e32 v8, v8, v9, vcc
	v_cmp_eq_u32_e32 vcc, s12, v2
	v_add_u32_e32 v3, v16, v3
	v_add_u32_e32 v12, -1, v12
	s_or_b64 s[10:11], vcc, s[10:11]
	s_mov_b32 s18, s12
	s_andn2_b64 exec, exec, s[10:11]
	s_cbranch_execnz .LBB0_20
; %bb.33:
	s_or_b64 exec, exec, s[10:11]
.LBB0_34:
	s_or_b64 exec, exec, s[6:7]
	v_add_u32_e32 v1, v9, v3
	v_cmp_eq_u32_e32 vcc, 4, v2
	v_cndmask_b32_e32 v12, v8, v1, vcc
	v_cmp_eq_u32_e32 vcc, 3, v2
	v_cndmask_b32_e32 v13, v7, v1, vcc
	;; [unrolled: 2-line block ×5, first 2 shown]
	v_cmp_gt_u32_e32 vcc, 3, v2
	s_and_saveexec_b64 s[10:11], vcc
	s_cbranch_execz .LBB0_38
; %bb.35:
	v_max_i32_e32 v1, 2, v0
	v_add_u32_e32 v0, -3, v1
	v_add_u32_e32 v1, -1, v1
	v_mov_b32_e32 v2, 0
	s_mov_b64 s[12:13], 0
.LBB0_36:                               ; =>This Inner Loop Header: Depth=1
	v_cmp_ne_u32_e32 vcc, 4, v1
	v_cndmask_b32_e32 v12, -1, v12, vcc
	v_cmp_ne_u32_e32 vcc, 3, v1
	v_cndmask_b32_e32 v13, -1, v13, vcc
	;; [unrolled: 2-line block ×4, first 2 shown]
	v_cmp_ne_u32_e32 vcc, 0, v1
	v_add_u32_e32 v0, 1, v0
	v_cndmask_b32_e32 v16, -1, v16, vcc
	v_add_co_u32_e32 v1, vcc, 1, v1
	v_cmp_lt_u32_e64 s[6:7], 1, v0
	s_or_b64 s[12:13], s[6:7], s[12:13]
	v_addc_co_u32_e32 v2, vcc, 0, v2, vcc
	s_andn2_b64 exec, exec, s[12:13]
	s_cbranch_execnz .LBB0_36
; %bb.37:
	s_or_b64 exec, exec, s[12:13]
.LBB0_38:
	s_or_b64 exec, exec, s[10:11]
.LBB0_39:
	s_or_b64 exec, exec, s[8:9]
	v_cmp_lt_i32_e32 vcc, 0, v14
	s_load_dwordx4 s[16:19], s[4:5], 0x8
	s_load_dwordx2 s[14:15], s[4:5], 0x18
	v_cmp_lt_i32_e64 s[4:5], 0, v16
	v_cndmask_b32_e64 v1, 0, 1, vcc
	v_cmp_lt_i32_e64 s[6:7], 0, v15
	v_cndmask_b32_e64 v0, 0, 1, s[4:5]
	v_cmp_lt_i32_e32 vcc, 0, v13
	v_addc_co_u32_e64 v1, s[6:7], 0, v1, s[6:7]
	v_cndmask_b32_e64 v2, 0, 1, vcc
	v_addc_co_u32_e32 v17, vcc, v1, v0, vcc
	v_mov_b32_e32 v0, 0
	v_addc_co_u32_e64 v18, s[4:5], v1, v2, s[4:5]
	v_mov_b32_e32 v2, v0
	v_mov_b32_e32 v3, v0
	;; [unrolled: 1-line block ×5, first 2 shown]
	s_or_b32 s52, 0, 8
	s_or_b32 s53, 0, 4
	s_mov_b32 s21, 0
	v_cmp_ne_u32_e32 vcc, 0, v17
	v_mov_b32_e32 v19, 6
	v_mov_b32_e32 v20, 7
	;; [unrolled: 1-line block ×5, first 2 shown]
	s_mov_b32 s54, 0
	v_mov_b32_e32 v24, 11
	v_mov_b32_e32 v25, 12
	;; [unrolled: 1-line block ×40, first 2 shown]
	s_branch .LBB0_41
.LBB0_40:                               ;   in Loop: Header=BB0_41 Depth=1
	s_or_b64 exec, exec, s[22:23]
	s_add_i32 s54, s54, 1
	s_cmp_lg_u32 s54, 45
	s_cbranch_scc0 .LBB0_193
.LBB0_41:                               ; =>This Loop Header: Depth=1
                                        ;     Child Loop BB0_133 Depth 2
                                        ;     Child Loop BB0_138 Depth 2
                                        ;       Child Loop BB0_140 Depth 3
                                        ;       Child Loop BB0_154 Depth 3
	;; [unrolled: 1-line block ×3, first 2 shown]
                                        ;         Child Loop BB0_177 Depth 4
                                        ;         Child Loop BB0_183 Depth 4
	;; [unrolled: 1-line block ×3, first 2 shown]
	s_cmp_eq_u32 s54, 0
	s_mov_b32 s5, s53
	s_mov_b32 s4, 1
	s_cbranch_scc1 .LBB0_43
; %bb.42:                               ;   in Loop: Header=BB0_41 Depth=1
	s_mov_b32 s4, 2
	s_mov_b32 s5, s52
	buffer_store_dword v0, off, s[0:3], 0 offset:4
.LBB0_43:                               ;   in Loop: Header=BB0_41 Depth=1
	s_cmp_eq_u32 s54, 1
	s_cbranch_scc0 .LBB0_88
; %bb.44:                               ;   in Loop: Header=BB0_41 Depth=1
	s_cmp_eq_u32 s54, 2
	s_cbranch_scc0 .LBB0_89
.LBB0_45:                               ;   in Loop: Header=BB0_41 Depth=1
	s_cmp_eq_u32 s54, 3
	s_cbranch_scc0 .LBB0_90
.LBB0_46:                               ;   in Loop: Header=BB0_41 Depth=1
	s_cmp_eq_u32 s54, 4
	s_cbranch_scc0 .LBB0_91
.LBB0_47:                               ;   in Loop: Header=BB0_41 Depth=1
	s_cmp_eq_u32 s54, 5
	s_cbranch_scc0 .LBB0_92
.LBB0_48:                               ;   in Loop: Header=BB0_41 Depth=1
	s_cmp_eq_u32 s54, 6
	s_cbranch_scc0 .LBB0_93
.LBB0_49:                               ;   in Loop: Header=BB0_41 Depth=1
	s_cmp_eq_u32 s54, 7
	s_cbranch_scc0 .LBB0_94
.LBB0_50:                               ;   in Loop: Header=BB0_41 Depth=1
	s_cmp_eq_u32 s54, 8
	s_cbranch_scc0 .LBB0_95
.LBB0_51:                               ;   in Loop: Header=BB0_41 Depth=1
	s_cmp_eq_u32 s54, 9
	s_cbranch_scc0 .LBB0_96
.LBB0_52:                               ;   in Loop: Header=BB0_41 Depth=1
	s_cmp_eq_u32 s54, 10
	s_cbranch_scc0 .LBB0_97
.LBB0_53:                               ;   in Loop: Header=BB0_41 Depth=1
	s_cmp_eq_u32 s54, 11
	s_cbranch_scc0 .LBB0_98
.LBB0_54:                               ;   in Loop: Header=BB0_41 Depth=1
	s_cmp_eq_u32 s54, 12
	s_cbranch_scc0 .LBB0_99
.LBB0_55:                               ;   in Loop: Header=BB0_41 Depth=1
	s_cmp_eq_u32 s54, 13
	s_cbranch_scc0 .LBB0_100
.LBB0_56:                               ;   in Loop: Header=BB0_41 Depth=1
	s_cmp_eq_u32 s54, 14
	s_cbranch_scc0 .LBB0_101
.LBB0_57:                               ;   in Loop: Header=BB0_41 Depth=1
	s_cmp_eq_u32 s54, 15
	s_cbranch_scc0 .LBB0_102
.LBB0_58:                               ;   in Loop: Header=BB0_41 Depth=1
	s_cmp_eq_u32 s54, 16
	s_cbranch_scc0 .LBB0_103
.LBB0_59:                               ;   in Loop: Header=BB0_41 Depth=1
	s_cmp_eq_u32 s54, 17
	s_cbranch_scc0 .LBB0_104
.LBB0_60:                               ;   in Loop: Header=BB0_41 Depth=1
	s_cmp_eq_u32 s54, 18
	s_cbranch_scc0 .LBB0_105
.LBB0_61:                               ;   in Loop: Header=BB0_41 Depth=1
	s_cmp_eq_u32 s54, 19
	s_cbranch_scc0 .LBB0_106
.LBB0_62:                               ;   in Loop: Header=BB0_41 Depth=1
	s_cmp_eq_u32 s54, 20
	s_cbranch_scc0 .LBB0_107
.LBB0_63:                               ;   in Loop: Header=BB0_41 Depth=1
	s_cmp_eq_u32 s54, 21
	s_cbranch_scc0 .LBB0_108
.LBB0_64:                               ;   in Loop: Header=BB0_41 Depth=1
	s_cmp_eq_u32 s54, 22
	s_cbranch_scc0 .LBB0_109
.LBB0_65:                               ;   in Loop: Header=BB0_41 Depth=1
	s_cmp_eq_u32 s54, 23
	s_cbranch_scc0 .LBB0_110
.LBB0_66:                               ;   in Loop: Header=BB0_41 Depth=1
	s_cmp_eq_u32 s54, 24
	s_cbranch_scc0 .LBB0_111
.LBB0_67:                               ;   in Loop: Header=BB0_41 Depth=1
	s_cmp_eq_u32 s54, 25
	s_cbranch_scc0 .LBB0_112
.LBB0_68:                               ;   in Loop: Header=BB0_41 Depth=1
	s_cmp_eq_u32 s54, 26
	s_cbranch_scc0 .LBB0_113
.LBB0_69:                               ;   in Loop: Header=BB0_41 Depth=1
	s_cmp_eq_u32 s54, 27
	s_cbranch_scc0 .LBB0_114
.LBB0_70:                               ;   in Loop: Header=BB0_41 Depth=1
	s_cmp_eq_u32 s54, 28
	s_cbranch_scc0 .LBB0_115
.LBB0_71:                               ;   in Loop: Header=BB0_41 Depth=1
	s_cmp_eq_u32 s54, 29
	s_cbranch_scc0 .LBB0_116
.LBB0_72:                               ;   in Loop: Header=BB0_41 Depth=1
	s_cmp_eq_u32 s54, 30
	s_cbranch_scc0 .LBB0_117
.LBB0_73:                               ;   in Loop: Header=BB0_41 Depth=1
	s_cmp_eq_u32 s54, 31
	s_cbranch_scc0 .LBB0_118
.LBB0_74:                               ;   in Loop: Header=BB0_41 Depth=1
	s_cmp_eq_u32 s54, 32
	s_cbranch_scc0 .LBB0_119
.LBB0_75:                               ;   in Loop: Header=BB0_41 Depth=1
	s_cmp_eq_u32 s54, 33
	s_cbranch_scc0 .LBB0_120
.LBB0_76:                               ;   in Loop: Header=BB0_41 Depth=1
	s_cmp_eq_u32 s54, 34
	s_cbranch_scc0 .LBB0_121
.LBB0_77:                               ;   in Loop: Header=BB0_41 Depth=1
	s_cmp_eq_u32 s54, 35
	s_cbranch_scc0 .LBB0_122
.LBB0_78:                               ;   in Loop: Header=BB0_41 Depth=1
	s_cmp_eq_u32 s54, 36
	s_cbranch_scc0 .LBB0_123
.LBB0_79:                               ;   in Loop: Header=BB0_41 Depth=1
	s_cmp_eq_u32 s54, 37
	s_cbranch_scc0 .LBB0_124
.LBB0_80:                               ;   in Loop: Header=BB0_41 Depth=1
	s_cmp_eq_u32 s54, 38
	s_cbranch_scc0 .LBB0_125
.LBB0_81:                               ;   in Loop: Header=BB0_41 Depth=1
	s_cmp_eq_u32 s54, 39
	s_cbranch_scc0 .LBB0_126
.LBB0_82:                               ;   in Loop: Header=BB0_41 Depth=1
	s_cmp_eq_u32 s54, 40
	s_cbranch_scc0 .LBB0_127
.LBB0_83:                               ;   in Loop: Header=BB0_41 Depth=1
	s_cmp_eq_u32 s54, 41
	s_cbranch_scc0 .LBB0_128
.LBB0_84:                               ;   in Loop: Header=BB0_41 Depth=1
	s_cmp_eq_u32 s54, 42
	s_cbranch_scc0 .LBB0_129
.LBB0_85:                               ;   in Loop: Header=BB0_41 Depth=1
	s_cmp_eq_u32 s54, 43
	s_cbranch_scc0 .LBB0_130
.LBB0_86:                               ;   in Loop: Header=BB0_41 Depth=1
	s_cmp_eq_u32 s54, 44
	s_cbranch_scc0 .LBB0_131
.LBB0_87:                               ;   in Loop: Header=BB0_41 Depth=1
	s_and_saveexec_b64 s[8:9], vcc
	s_cbranch_execnz .LBB0_132
	s_branch .LBB0_135
.LBB0_88:                               ;   in Loop: Header=BB0_41 Depth=1
	s_add_i32 s4, s4, 1
	v_mov_b32_e32 v1, s5
	v_mov_b32_e32 v7, 1
	buffer_store_dword v7, v1, s[0:3], 0 offen
	s_cmp_eq_u32 s54, 2
	s_cbranch_scc1 .LBB0_45
.LBB0_89:                               ;   in Loop: Header=BB0_41 Depth=1
	s_lshl_b32 s5, s4, 2
	v_mov_b32_e32 v1, s5
	s_add_i32 s4, s4, 1
	buffer_store_dword v58, v1, s[0:3], 0 offen
	s_cmp_eq_u32 s54, 3
	s_cbranch_scc1 .LBB0_46
.LBB0_90:                               ;   in Loop: Header=BB0_41 Depth=1
	s_lshl_b32 s5, s4, 2
	v_mov_b32_e32 v1, s5
	s_add_i32 s4, s4, 1
	v_mov_b32_e32 v7, 3
	buffer_store_dword v7, v1, s[0:3], 0 offen
	s_cmp_eq_u32 s54, 4
	s_cbranch_scc1 .LBB0_47
.LBB0_91:                               ;   in Loop: Header=BB0_41 Depth=1
	s_lshl_b32 s5, s4, 2
	v_mov_b32_e32 v1, s5
	s_add_i32 s4, s4, 1
	v_mov_b32_e32 v7, 4
	buffer_store_dword v7, v1, s[0:3], 0 offen
	s_cmp_eq_u32 s54, 5
	s_cbranch_scc1 .LBB0_48
.LBB0_92:                               ;   in Loop: Header=BB0_41 Depth=1
	s_lshl_b32 s5, s4, 2
	v_mov_b32_e32 v1, s5
	s_add_i32 s4, s4, 1
	v_mov_b32_e32 v7, 5
	buffer_store_dword v7, v1, s[0:3], 0 offen
	s_cmp_eq_u32 s54, 6
	s_cbranch_scc1 .LBB0_49
.LBB0_93:                               ;   in Loop: Header=BB0_41 Depth=1
	s_lshl_b32 s5, s4, 2
	v_mov_b32_e32 v1, s5
	s_add_i32 s4, s4, 1
	buffer_store_dword v19, v1, s[0:3], 0 offen
	s_cmp_eq_u32 s54, 7
	s_cbranch_scc1 .LBB0_50
.LBB0_94:                               ;   in Loop: Header=BB0_41 Depth=1
	s_lshl_b32 s5, s4, 2
	v_mov_b32_e32 v1, s5
	s_add_i32 s4, s4, 1
	buffer_store_dword v20, v1, s[0:3], 0 offen
	s_cmp_eq_u32 s54, 8
	s_cbranch_scc1 .LBB0_51
.LBB0_95:                               ;   in Loop: Header=BB0_41 Depth=1
	s_lshl_b32 s5, s4, 2
	v_mov_b32_e32 v1, s5
	s_add_i32 s4, s4, 1
	buffer_store_dword v21, v1, s[0:3], 0 offen
	s_cmp_eq_u32 s54, 9
	s_cbranch_scc1 .LBB0_52
.LBB0_96:                               ;   in Loop: Header=BB0_41 Depth=1
	s_lshl_b32 s5, s4, 2
	v_mov_b32_e32 v1, s5
	s_add_i32 s4, s4, 1
	buffer_store_dword v22, v1, s[0:3], 0 offen
	s_cmp_eq_u32 s54, 10
	s_cbranch_scc1 .LBB0_53
.LBB0_97:                               ;   in Loop: Header=BB0_41 Depth=1
	s_lshl_b32 s5, s4, 2
	v_mov_b32_e32 v1, s5
	s_add_i32 s4, s4, 1
	buffer_store_dword v23, v1, s[0:3], 0 offen
	s_cmp_eq_u32 s54, 11
	s_cbranch_scc1 .LBB0_54
.LBB0_98:                               ;   in Loop: Header=BB0_41 Depth=1
	s_lshl_b32 s5, s4, 2
	v_mov_b32_e32 v1, s5
	s_add_i32 s4, s4, 1
	buffer_store_dword v24, v1, s[0:3], 0 offen
	s_cmp_eq_u32 s54, 12
	s_cbranch_scc1 .LBB0_55
.LBB0_99:                               ;   in Loop: Header=BB0_41 Depth=1
	s_lshl_b32 s5, s4, 2
	v_mov_b32_e32 v1, s5
	s_add_i32 s4, s4, 1
	buffer_store_dword v25, v1, s[0:3], 0 offen
	s_cmp_eq_u32 s54, 13
	s_cbranch_scc1 .LBB0_56
.LBB0_100:                              ;   in Loop: Header=BB0_41 Depth=1
	s_lshl_b32 s5, s4, 2
	v_mov_b32_e32 v1, s5
	s_add_i32 s4, s4, 1
	buffer_store_dword v26, v1, s[0:3], 0 offen
	s_cmp_eq_u32 s54, 14
	s_cbranch_scc1 .LBB0_57
.LBB0_101:                              ;   in Loop: Header=BB0_41 Depth=1
	s_lshl_b32 s5, s4, 2
	v_mov_b32_e32 v1, s5
	s_add_i32 s4, s4, 1
	buffer_store_dword v27, v1, s[0:3], 0 offen
	s_cmp_eq_u32 s54, 15
	s_cbranch_scc1 .LBB0_58
.LBB0_102:                              ;   in Loop: Header=BB0_41 Depth=1
	s_lshl_b32 s5, s4, 2
	v_mov_b32_e32 v1, s5
	s_add_i32 s4, s4, 1
	buffer_store_dword v28, v1, s[0:3], 0 offen
	s_cmp_eq_u32 s54, 16
	s_cbranch_scc1 .LBB0_59
.LBB0_103:                              ;   in Loop: Header=BB0_41 Depth=1
	s_lshl_b32 s5, s4, 2
	v_mov_b32_e32 v1, s5
	s_add_i32 s4, s4, 1
	buffer_store_dword v29, v1, s[0:3], 0 offen
	s_cmp_eq_u32 s54, 17
	s_cbranch_scc1 .LBB0_60
.LBB0_104:                              ;   in Loop: Header=BB0_41 Depth=1
	s_lshl_b32 s5, s4, 2
	v_mov_b32_e32 v1, s5
	s_add_i32 s4, s4, 1
	buffer_store_dword v30, v1, s[0:3], 0 offen
	s_cmp_eq_u32 s54, 18
	s_cbranch_scc1 .LBB0_61
.LBB0_105:                              ;   in Loop: Header=BB0_41 Depth=1
	s_lshl_b32 s5, s4, 2
	v_mov_b32_e32 v1, s5
	s_add_i32 s4, s4, 1
	buffer_store_dword v31, v1, s[0:3], 0 offen
	s_cmp_eq_u32 s54, 19
	s_cbranch_scc1 .LBB0_62
.LBB0_106:                              ;   in Loop: Header=BB0_41 Depth=1
	s_lshl_b32 s5, s4, 2
	v_mov_b32_e32 v1, s5
	s_add_i32 s4, s4, 1
	buffer_store_dword v32, v1, s[0:3], 0 offen
	s_cmp_eq_u32 s54, 20
	s_cbranch_scc1 .LBB0_63
.LBB0_107:                              ;   in Loop: Header=BB0_41 Depth=1
	s_lshl_b32 s5, s4, 2
	v_mov_b32_e32 v1, s5
	s_add_i32 s4, s4, 1
	buffer_store_dword v33, v1, s[0:3], 0 offen
	s_cmp_eq_u32 s54, 21
	s_cbranch_scc1 .LBB0_64
.LBB0_108:                              ;   in Loop: Header=BB0_41 Depth=1
	s_lshl_b32 s5, s4, 2
	v_mov_b32_e32 v1, s5
	s_add_i32 s4, s4, 1
	buffer_store_dword v34, v1, s[0:3], 0 offen
	s_cmp_eq_u32 s54, 22
	s_cbranch_scc1 .LBB0_65
.LBB0_109:                              ;   in Loop: Header=BB0_41 Depth=1
	s_lshl_b32 s5, s4, 2
	v_mov_b32_e32 v1, s5
	s_add_i32 s4, s4, 1
	buffer_store_dword v35, v1, s[0:3], 0 offen
	s_cmp_eq_u32 s54, 23
	s_cbranch_scc1 .LBB0_66
.LBB0_110:                              ;   in Loop: Header=BB0_41 Depth=1
	s_lshl_b32 s5, s4, 2
	v_mov_b32_e32 v1, s5
	s_add_i32 s4, s4, 1
	buffer_store_dword v36, v1, s[0:3], 0 offen
	s_cmp_eq_u32 s54, 24
	s_cbranch_scc1 .LBB0_67
.LBB0_111:                              ;   in Loop: Header=BB0_41 Depth=1
	s_lshl_b32 s5, s4, 2
	v_mov_b32_e32 v1, s5
	s_add_i32 s4, s4, 1
	buffer_store_dword v37, v1, s[0:3], 0 offen
	s_cmp_eq_u32 s54, 25
	s_cbranch_scc1 .LBB0_68
.LBB0_112:                              ;   in Loop: Header=BB0_41 Depth=1
	s_lshl_b32 s5, s4, 2
	v_mov_b32_e32 v1, s5
	s_add_i32 s4, s4, 1
	buffer_store_dword v38, v1, s[0:3], 0 offen
	s_cmp_eq_u32 s54, 26
	s_cbranch_scc1 .LBB0_69
.LBB0_113:                              ;   in Loop: Header=BB0_41 Depth=1
	s_lshl_b32 s5, s4, 2
	v_mov_b32_e32 v1, s5
	s_add_i32 s4, s4, 1
	buffer_store_dword v39, v1, s[0:3], 0 offen
	s_cmp_eq_u32 s54, 27
	s_cbranch_scc1 .LBB0_70
.LBB0_114:                              ;   in Loop: Header=BB0_41 Depth=1
	s_lshl_b32 s5, s4, 2
	v_mov_b32_e32 v1, s5
	s_add_i32 s4, s4, 1
	buffer_store_dword v40, v1, s[0:3], 0 offen
	s_cmp_eq_u32 s54, 28
	s_cbranch_scc1 .LBB0_71
.LBB0_115:                              ;   in Loop: Header=BB0_41 Depth=1
	s_lshl_b32 s5, s4, 2
	v_mov_b32_e32 v1, s5
	s_add_i32 s4, s4, 1
	buffer_store_dword v41, v1, s[0:3], 0 offen
	s_cmp_eq_u32 s54, 29
	s_cbranch_scc1 .LBB0_72
.LBB0_116:                              ;   in Loop: Header=BB0_41 Depth=1
	s_lshl_b32 s5, s4, 2
	v_mov_b32_e32 v1, s5
	s_add_i32 s4, s4, 1
	buffer_store_dword v42, v1, s[0:3], 0 offen
	s_cmp_eq_u32 s54, 30
	s_cbranch_scc1 .LBB0_73
.LBB0_117:                              ;   in Loop: Header=BB0_41 Depth=1
	s_lshl_b32 s5, s4, 2
	v_mov_b32_e32 v1, s5
	s_add_i32 s4, s4, 1
	buffer_store_dword v43, v1, s[0:3], 0 offen
	s_cmp_eq_u32 s54, 31
	s_cbranch_scc1 .LBB0_74
.LBB0_118:                              ;   in Loop: Header=BB0_41 Depth=1
	s_lshl_b32 s5, s4, 2
	v_mov_b32_e32 v1, s5
	s_add_i32 s4, s4, 1
	buffer_store_dword v44, v1, s[0:3], 0 offen
	s_cmp_eq_u32 s54, 32
	s_cbranch_scc1 .LBB0_75
.LBB0_119:                              ;   in Loop: Header=BB0_41 Depth=1
	s_lshl_b32 s5, s4, 2
	v_mov_b32_e32 v1, s5
	s_add_i32 s4, s4, 1
	buffer_store_dword v45, v1, s[0:3], 0 offen
	s_cmp_eq_u32 s54, 33
	s_cbranch_scc1 .LBB0_76
.LBB0_120:                              ;   in Loop: Header=BB0_41 Depth=1
	s_lshl_b32 s5, s4, 2
	v_mov_b32_e32 v1, s5
	s_add_i32 s4, s4, 1
	buffer_store_dword v46, v1, s[0:3], 0 offen
	s_cmp_eq_u32 s54, 34
	s_cbranch_scc1 .LBB0_77
.LBB0_121:                              ;   in Loop: Header=BB0_41 Depth=1
	s_lshl_b32 s5, s4, 2
	v_mov_b32_e32 v1, s5
	s_add_i32 s4, s4, 1
	buffer_store_dword v47, v1, s[0:3], 0 offen
	s_cmp_eq_u32 s54, 35
	s_cbranch_scc1 .LBB0_78
.LBB0_122:                              ;   in Loop: Header=BB0_41 Depth=1
	s_lshl_b32 s5, s4, 2
	v_mov_b32_e32 v1, s5
	s_add_i32 s4, s4, 1
	buffer_store_dword v48, v1, s[0:3], 0 offen
	s_cmp_eq_u32 s54, 36
	s_cbranch_scc1 .LBB0_79
.LBB0_123:                              ;   in Loop: Header=BB0_41 Depth=1
	s_lshl_b32 s5, s4, 2
	v_mov_b32_e32 v1, s5
	s_add_i32 s4, s4, 1
	buffer_store_dword v49, v1, s[0:3], 0 offen
	s_cmp_eq_u32 s54, 37
	s_cbranch_scc1 .LBB0_80
.LBB0_124:                              ;   in Loop: Header=BB0_41 Depth=1
	s_lshl_b32 s5, s4, 2
	v_mov_b32_e32 v1, s5
	s_add_i32 s4, s4, 1
	buffer_store_dword v50, v1, s[0:3], 0 offen
	s_cmp_eq_u32 s54, 38
	s_cbranch_scc1 .LBB0_81
.LBB0_125:                              ;   in Loop: Header=BB0_41 Depth=1
	s_lshl_b32 s5, s4, 2
	v_mov_b32_e32 v1, s5
	s_add_i32 s4, s4, 1
	buffer_store_dword v51, v1, s[0:3], 0 offen
	s_cmp_eq_u32 s54, 39
	s_cbranch_scc1 .LBB0_82
.LBB0_126:                              ;   in Loop: Header=BB0_41 Depth=1
	s_lshl_b32 s5, s4, 2
	v_mov_b32_e32 v1, s5
	s_add_i32 s4, s4, 1
	buffer_store_dword v52, v1, s[0:3], 0 offen
	s_cmp_eq_u32 s54, 40
	s_cbranch_scc1 .LBB0_83
.LBB0_127:                              ;   in Loop: Header=BB0_41 Depth=1
	s_lshl_b32 s5, s4, 2
	v_mov_b32_e32 v1, s5
	s_add_i32 s4, s4, 1
	buffer_store_dword v53, v1, s[0:3], 0 offen
	s_cmp_eq_u32 s54, 41
	s_cbranch_scc1 .LBB0_84
.LBB0_128:                              ;   in Loop: Header=BB0_41 Depth=1
	s_lshl_b32 s5, s4, 2
	v_mov_b32_e32 v1, s5
	s_add_i32 s4, s4, 1
	buffer_store_dword v54, v1, s[0:3], 0 offen
	s_cmp_eq_u32 s54, 42
	s_cbranch_scc1 .LBB0_85
.LBB0_129:                              ;   in Loop: Header=BB0_41 Depth=1
	s_lshl_b32 s5, s4, 2
	v_mov_b32_e32 v1, s5
	s_add_i32 s4, s4, 1
	buffer_store_dword v55, v1, s[0:3], 0 offen
	s_cmp_eq_u32 s54, 43
	s_cbranch_scc1 .LBB0_86
.LBB0_130:                              ;   in Loop: Header=BB0_41 Depth=1
	s_lshl_b32 s5, s4, 2
	v_mov_b32_e32 v1, s5
	s_add_i32 s4, s4, 1
	buffer_store_dword v56, v1, s[0:3], 0 offen
	s_cmp_eq_u32 s54, 44
	s_cbranch_scc1 .LBB0_87
.LBB0_131:                              ;   in Loop: Header=BB0_41 Depth=1
	s_lshl_b32 s4, s4, 2
	v_mov_b32_e32 v1, s4
	buffer_store_dword v57, v1, s[0:3], 0 offen
	s_and_saveexec_b64 s[8:9], vcc
	s_cbranch_execz .LBB0_135
.LBB0_132:                              ;   in Loop: Header=BB0_41 Depth=1
	s_mov_b64 s[10:11], 0
	s_mov_b64 s[12:13], 0
.LBB0_133:                              ;   Parent Loop BB0_41 Depth=1
                                        ; =>  This Inner Loop Header: Depth=2
	s_cmp_lg_u32 s12, 4
	s_cselect_b64 s[4:5], -1, 0
	s_cmp_lg_u32 s12, 3
	v_cndmask_b32_e64 v6, 0, v6, s[4:5]
	s_cselect_b64 s[4:5], -1, 0
	s_cmp_lg_u32 s12, 2
	v_cndmask_b32_e64 v5, 0, v5, s[4:5]
	s_cselect_b64 s[4:5], -1, 0
	s_cmp_lg_u32 s12, 1
	v_cndmask_b32_e64 v4, 0, v4, s[4:5]
	s_cselect_b64 s[4:5], -1, 0
	s_cmp_lg_u32 s12, 0
	v_cndmask_b32_e64 v3, 0, v3, s[4:5]
	s_cselect_b64 s[4:5], -1, 0
	s_add_u32 s12, s12, 1
	s_addc_u32 s13, s13, 0
	v_cmp_eq_u32_e64 s[6:7], s12, v18
	s_or_b64 s[10:11], s[6:7], s[10:11]
	v_cndmask_b32_e64 v2, 0, v2, s[4:5]
	s_andn2_b64 exec, exec, s[10:11]
	s_cbranch_execnz .LBB0_133
; %bb.134:                              ;   in Loop: Header=BB0_41 Depth=1
	s_or_b64 exec, exec, s[10:11]
.LBB0_135:                              ;   in Loop: Header=BB0_41 Depth=1
	s_or_b64 exec, exec, s[8:9]
	s_mul_i32 s4, s54, s33
	v_add_u32_e32 v7, s4, v11
	v_ashrrev_i32_e32 v8, 31, v7
	v_lshlrev_b64 v[7:8], 2, v[7:8]
	s_waitcnt lgkmcnt(0)
	v_mov_b32_e32 v1, s17
	v_add_co_u32_e64 v7, s[4:5], s16, v7
	v_addc_co_u32_e64 v8, s[4:5], v1, v8, s[4:5]
	s_mov_b32 s55, 0
	s_mov_b64 s[22:23], 0
	s_branch .LBB0_138
.LBB0_136:                              ;   in Loop: Header=BB0_138 Depth=2
	v_ashrrev_i32_e32 v61, 31, v9
	v_mov_b32_e32 v60, v9
	v_lshlrev_b64 v[60:61], 2, v[60:61]
	v_mov_b32_e32 v1, s15
	v_add_co_u32_e64 v62, s[4:5], s14, v60
	v_addc_co_u32_e64 v63, s[4:5], v1, v61, s[4:5]
	global_load_dword v1, v[62:63], off
	v_ashrrev_i32_e32 v63, 31, v10
	v_mov_b32_e32 v62, v10
	v_lshlrev_b64 v[9:10], 2, v[62:63]
	v_mov_b32_e32 v62, s15
	v_add_co_u32_e64 v9, s[4:5], s14, v9
	v_addc_co_u32_e64 v10, s[4:5], v62, v10, s[4:5]
	global_load_dword v62, v[9:10], off
	v_add_co_u32_e64 v9, s[4:5], v9, v60
	v_addc_co_u32_e64 v10, s[4:5], v10, v61, s[4:5]
	global_load_dword v9, v[9:10], off offset:4
	s_add_i32 s55, s55, 1
	s_xor_b64 s[6:7], exec, -1
	s_waitcnt vmcnt(2)
	v_add_f32_e32 v1, 0, v1
	s_waitcnt vmcnt(1)
	v_add_f32_e32 v1, v1, v62
	s_waitcnt vmcnt(0)
	v_sub_f32_e32 v1, v1, v9
	global_load_dword v9, v0, s[14:15] offset:4
	s_waitcnt vmcnt(0)
	v_add_f32_e32 v1, v1, v9
	global_load_dword v9, v[7:8], off
	s_waitcnt vmcnt(0)
	v_add_f32_e32 v1, v9, v1
	global_store_dword v[7:8], v1, off
.LBB0_137:                              ;   in Loop: Header=BB0_138 Depth=2
	s_or_b64 exec, exec, s[24:25]
	s_and_b64 s[4:5], exec, s[6:7]
	s_or_b64 s[22:23], s[4:5], s[22:23]
	s_andn2_b64 exec, exec, s[22:23]
	s_cbranch_execz .LBB0_40
.LBB0_138:                              ;   Parent Loop BB0_41 Depth=1
                                        ; =>  This Loop Header: Depth=2
                                        ;       Child Loop BB0_140 Depth 3
                                        ;       Child Loop BB0_154 Depth 3
	;; [unrolled: 1-line block ×3, first 2 shown]
                                        ;         Child Loop BB0_177 Depth 4
                                        ;         Child Loop BB0_183 Depth 4
	;; [unrolled: 1-line block ×3, first 2 shown]
	v_mov_b32_e32 v1, 1
	s_and_saveexec_b64 s[6:7], vcc
	s_cbranch_execz .LBB0_142
; %bb.139:                              ;   in Loop: Header=BB0_138 Depth=2
	s_mov_b32 s10, 1
	s_mov_b64 s[8:9], 0
	v_mov_b32_e32 v9, v17
.LBB0_140:                              ;   Parent Loop BB0_41 Depth=1
                                        ;     Parent Loop BB0_138 Depth=2
                                        ; =>    This Inner Loop Header: Depth=3
	v_add_u32_e32 v9, -1, v9
	s_lshl_b32 s10, s10, 1
	v_cmp_eq_u32_e64 s[4:5], 0, v9
	s_or_b64 s[8:9], s[4:5], s[8:9]
	v_mov_b32_e32 v1, s10
	s_andn2_b64 exec, exec, s[8:9]
	s_cbranch_execnz .LBB0_140
; %bb.141:                              ;   in Loop: Header=BB0_138 Depth=2
	s_or_b64 exec, exec, s[8:9]
.LBB0_142:                              ;   in Loop: Header=BB0_138 Depth=2
	s_or_b64 exec, exec, s[6:7]
	s_cmp_lg_u32 s55, 0
	v_cmp_lt_u32_e64 s[4:5], s55, v1
	s_cselect_b64 s[6:7], -1, 0
	s_and_b64 s[6:7], s[6:7], s[4:5]
	s_and_saveexec_b64 s[24:25], s[6:7]
	s_cbranch_execz .LBB0_166
; %bb.143:                              ;   in Loop: Header=BB0_138 Depth=2
	v_add_u32_e32 v1, 1, v2
	v_cmp_lt_i32_e64 s[6:7], 0, v2
	v_mov_b32_e32 v2, v1
	s_and_saveexec_b64 s[26:27], s[6:7]
	s_cbranch_execz .LBB0_165
; %bb.144:                              ;   in Loop: Header=BB0_138 Depth=2
	v_mov_b32_e32 v2, s21
	s_mov_b64 s[30:31], 9
	s_mov_b64 s[28:29], 0
                                        ; implicit-def: $sgpr34_sgpr35
	s_branch .LBB0_154
.LBB0_145:                              ;   in Loop: Header=BB0_154 Depth=3
	s_or_b64 exec, exec, s[8:9]
	s_orn2_b64 s[8:9], s[10:11], exec
.LBB0_146:                              ;   in Loop: Header=BB0_154 Depth=3
	s_or_b64 exec, exec, s[50:51]
	s_orn2_b64 s[8:9], s[8:9], exec
.LBB0_147:                              ;   in Loop: Header=BB0_154 Depth=3
	s_or_b64 exec, exec, s[48:49]
	s_orn2_b64 s[8:9], s[8:9], exec
.LBB0_148:                              ;   in Loop: Header=BB0_154 Depth=3
	s_or_b64 exec, exec, s[46:47]
	s_orn2_b64 s[8:9], s[8:9], exec
.LBB0_149:                              ;   in Loop: Header=BB0_154 Depth=3
	s_or_b64 exec, exec, s[44:45]
	s_orn2_b64 s[8:9], s[8:9], exec
.LBB0_150:                              ;   in Loop: Header=BB0_154 Depth=3
	s_or_b64 exec, exec, s[42:43]
	s_orn2_b64 s[8:9], s[8:9], exec
.LBB0_151:                              ;   in Loop: Header=BB0_154 Depth=3
	s_or_b64 exec, exec, s[40:41]
	s_orn2_b64 s[8:9], s[8:9], exec
.LBB0_152:                              ;   in Loop: Header=BB0_154 Depth=3
	s_or_b64 exec, exec, s[38:39]
	s_andn2_b64 s[6:7], s[34:35], exec
	s_and_b64 s[8:9], s[8:9], exec
	s_or_b64 s[34:35], s[6:7], s[8:9]
.LBB0_153:                              ;   in Loop: Header=BB0_154 Depth=3
	s_or_b64 exec, exec, s[36:37]
	s_and_b64 s[6:7], exec, s[34:35]
	s_or_b64 s[28:29], s[6:7], s[28:29]
	s_andn2_b64 exec, exec, s[28:29]
	s_cbranch_execz .LBB0_164
.LBB0_154:                              ;   Parent Loop BB0_41 Depth=1
                                        ;     Parent Loop BB0_138 Depth=2
                                        ; =>    This Inner Loop Header: Depth=3
	s_add_u32 s20, s30, -8
	s_cmp_eq_u32 s20, 1
	s_cselect_b64 s[6:7], -1, 0
	s_cmp_eq_u32 s20, 2
	v_cndmask_b32_e64 v1, v2, v3, s[6:7]
	s_cselect_b64 s[8:9], -1, 0
	s_cmp_eq_u32 s20, 3
	v_cndmask_b32_e64 v1, v1, v4, s[8:9]
	;; [unrolled: 3-line block ×3, first 2 shown]
	s_cselect_b64 s[12:13], -1, 0
	v_cndmask_b32_e64 v1, v1, v6, s[12:13]
	v_add_u32_e32 v9, 1, v1
	s_cmp_eq_u32 s20, 0
	v_cndmask_b32_e64 v3, v3, v9, s[6:7]
	s_cselect_b64 s[6:7], -1, 0
	v_cndmask_b32_e64 v6, v6, v9, s[12:13]
	v_cndmask_b32_e64 v5, v5, v9, s[10:11]
	;; [unrolled: 1-line block ×4, first 2 shown]
	v_cmp_lt_i32_e64 s[6:7], 0, v1
	s_or_b64 s[34:35], s[34:35], exec
	s_and_saveexec_b64 s[36:37], s[6:7]
	s_cbranch_execz .LBB0_153
; %bb.155:                              ;   in Loop: Header=BB0_154 Depth=3
	s_cmp_lg_u32 s20, 4
	s_cselect_b64 s[6:7], -1, 0
	s_cmp_lg_u32 s20, 3
	v_cndmask_b32_e64 v1, 0, v6, s[6:7]
	s_cselect_b64 s[6:7], -1, 0
	s_cmp_lg_u32 s20, 2
	v_cndmask_b32_e64 v5, 0, v5, s[6:7]
	s_cselect_b64 s[6:7], -1, 0
	s_cmp_lg_u32 s20, 1
	v_cndmask_b32_e64 v4, 0, v4, s[6:7]
	s_cselect_b64 s[6:7], -1, 0
	s_cmp_lg_u32 s20, 0
	v_cndmask_b32_e64 v3, 0, v3, s[6:7]
	s_cselect_b64 s[6:7], -1, 0
	s_add_u32 s20, s30, -7
	s_cmp_eq_u32 s20, 1
	v_cndmask_b32_e64 v2, 0, v2, s[6:7]
	s_cselect_b64 s[6:7], -1, 0
	s_cmp_eq_u32 s20, 2
	v_cndmask_b32_e64 v6, v2, v3, s[6:7]
	s_cselect_b64 s[8:9], -1, 0
	s_cmp_eq_u32 s20, 3
	v_cndmask_b32_e64 v6, v6, v4, s[8:9]
	s_cselect_b64 s[10:11], -1, 0
	s_cmp_eq_u32 s20, 4
	v_cndmask_b32_e64 v6, v6, v5, s[10:11]
	s_cselect_b64 s[12:13], -1, 0
	v_cndmask_b32_e64 v9, v6, v1, s[12:13]
	v_add_u32_e32 v10, 1, v9
	s_cmp_eq_u32 s20, 0
	v_cndmask_b32_e64 v3, v3, v10, s[6:7]
	s_cselect_b64 s[6:7], -1, 0
	v_cndmask_b32_e64 v6, v1, v10, s[12:13]
	v_cndmask_b32_e64 v5, v5, v10, s[10:11]
	v_cndmask_b32_e64 v4, v4, v10, s[8:9]
	v_cndmask_b32_e64 v2, v2, v10, s[6:7]
	v_cmp_lt_i32_e64 s[6:7], 0, v9
	s_mov_b64 s[8:9], -1
	s_and_saveexec_b64 s[38:39], s[6:7]
	s_cbranch_execz .LBB0_152
; %bb.156:                              ;   in Loop: Header=BB0_154 Depth=3
	s_cmp_lg_u32 s20, 4
	s_cselect_b64 s[6:7], -1, 0
	s_cmp_lg_u32 s20, 3
	v_cndmask_b32_e64 v1, 0, v6, s[6:7]
	s_cselect_b64 s[6:7], -1, 0
	s_cmp_lg_u32 s20, 2
	v_cndmask_b32_e64 v5, 0, v5, s[6:7]
	s_cselect_b64 s[6:7], -1, 0
	s_cmp_lg_u32 s20, 1
	v_cndmask_b32_e64 v4, 0, v4, s[6:7]
	s_cselect_b64 s[6:7], -1, 0
	s_cmp_lg_u32 s20, 0
	v_cndmask_b32_e64 v3, 0, v3, s[6:7]
	s_cselect_b64 s[6:7], -1, 0
	s_add_u32 s20, s30, -6
	s_cmp_eq_u32 s20, 1
	v_cndmask_b32_e64 v2, 0, v2, s[6:7]
	s_cselect_b64 s[6:7], -1, 0
	s_cmp_eq_u32 s20, 2
	v_cndmask_b32_e64 v6, v2, v3, s[6:7]
	s_cselect_b64 s[8:9], -1, 0
	s_cmp_eq_u32 s20, 3
	v_cndmask_b32_e64 v6, v6, v4, s[8:9]
	s_cselect_b64 s[10:11], -1, 0
	s_cmp_eq_u32 s20, 4
	v_cndmask_b32_e64 v6, v6, v5, s[10:11]
	s_cselect_b64 s[12:13], -1, 0
	v_cndmask_b32_e64 v9, v6, v1, s[12:13]
	v_add_u32_e32 v10, 1, v9
	s_cmp_eq_u32 s20, 0
	v_cndmask_b32_e64 v3, v3, v10, s[6:7]
	s_cselect_b64 s[6:7], -1, 0
	v_cndmask_b32_e64 v6, v1, v10, s[12:13]
	v_cndmask_b32_e64 v5, v5, v10, s[10:11]
	v_cndmask_b32_e64 v4, v4, v10, s[8:9]
	v_cndmask_b32_e64 v2, v2, v10, s[6:7]
	v_cmp_lt_i32_e64 s[6:7], 0, v9
	s_mov_b64 s[8:9], -1
	;; [unrolled: 41-line block ×7, first 2 shown]
	s_and_saveexec_b64 s[50:51], s[6:7]
	s_cbranch_execz .LBB0_146
; %bb.162:                              ;   in Loop: Header=BB0_154 Depth=3
	s_cmp_lg_u32 s20, 4
	s_cselect_b64 s[6:7], -1, 0
	s_cmp_lg_u32 s20, 3
	v_cndmask_b32_e64 v1, 0, v6, s[6:7]
	s_cselect_b64 s[6:7], -1, 0
	s_cmp_lg_u32 s20, 2
	v_cndmask_b32_e64 v5, 0, v5, s[6:7]
	;; [unrolled: 3-line block ×4, first 2 shown]
	s_cselect_b64 s[6:7], -1, 0
	s_cmp_eq_u32 s30, 1
	v_cndmask_b32_e64 v2, 0, v2, s[6:7]
	s_cselect_b64 s[6:7], -1, 0
	s_cmp_eq_u32 s30, 2
	v_cndmask_b32_e64 v6, v2, v3, s[6:7]
	;; [unrolled: 3-line block ×4, first 2 shown]
	s_cselect_b64 s[12:13], -1, 0
	v_cndmask_b32_e64 v9, v6, v1, s[12:13]
	v_add_u32_e32 v10, 1, v9
	s_cmp_eq_u32 s30, 0
	v_cndmask_b32_e64 v3, v3, v10, s[6:7]
	s_cselect_b64 s[6:7], -1, 0
	v_cndmask_b32_e64 v6, v1, v10, s[12:13]
	v_cndmask_b32_e64 v5, v5, v10, s[10:11]
	;; [unrolled: 1-line block ×4, first 2 shown]
	v_cmp_lt_i32_e64 s[6:7], 0, v9
	s_mov_b64 s[10:11], -1
	s_and_saveexec_b64 s[8:9], s[6:7]
	s_cbranch_execz .LBB0_145
; %bb.163:                              ;   in Loop: Header=BB0_154 Depth=3
	s_cmp_lg_u32 s30, 4
	s_cselect_b64 s[6:7], -1, 0
	s_cmp_lg_u32 s30, 3
	v_cndmask_b32_e64 v6, 0, v6, s[6:7]
	s_cselect_b64 s[6:7], -1, 0
	s_cmp_lg_u32 s30, 2
	v_cndmask_b32_e64 v5, 0, v5, s[6:7]
	;; [unrolled: 3-line block ×4, first 2 shown]
	s_cselect_b64 s[6:7], -1, 0
	s_add_u32 s30, s30, 9
	s_addc_u32 s31, s31, 0
	s_cmp_eq_u32 s30, 54
	v_cndmask_b32_e64 v2, 0, v2, s[6:7]
	s_cselect_b64 s[6:7], -1, 0
	s_orn2_b64 s[10:11], s[6:7], exec
	s_branch .LBB0_145
.LBB0_164:                              ;   in Loop: Header=BB0_138 Depth=2
	s_or_b64 exec, exec, s[28:29]
.LBB0_165:                              ;   in Loop: Header=BB0_138 Depth=2
	s_or_b64 exec, exec, s[26:27]
.LBB0_166:                              ;   in Loop: Header=BB0_138 Depth=2
	s_or_b64 exec, exec, s[24:25]
	s_mov_b64 s[6:7], -1
	s_and_saveexec_b64 s[24:25], s[4:5]
	s_cbranch_execz .LBB0_137
; %bb.167:                              ;   in Loop: Header=BB0_138 Depth=2
	v_mov_b32_e32 v1, v0
	v_mov_b32_e32 v10, v1
	s_mov_b32 s40, 0
	v_mov_b32_e32 v9, v0
	s_branch .LBB0_169
.LBB0_168:                              ;   in Loop: Header=BB0_169 Depth=3
	s_or_b64 exec, exec, s[6:7]
	s_add_i32 s40, s40, 3
	s_cmpk_eq_i32 s40, 0x258
	s_cbranch_scc1 .LBB0_136
.LBB0_169:                              ;   Parent Loop BB0_41 Depth=1
                                        ;     Parent Loop BB0_138 Depth=2
                                        ; =>    This Loop Header: Depth=3
                                        ;         Child Loop BB0_177 Depth 4
                                        ;         Child Loop BB0_183 Depth 4
	;; [unrolled: 1-line block ×3, first 2 shown]
	s_mul_i32 s41, s40, 45
	s_mov_b64 s[4:5], -1
	s_and_saveexec_b64 s[26:27], vcc
	s_cbranch_execnz .LBB0_175
; %bb.170:                              ;   in Loop: Header=BB0_169 Depth=3
	s_or_b64 exec, exec, s[26:27]
	s_and_saveexec_b64 s[6:7], s[4:5]
	s_cbranch_execnz .LBB0_180
.LBB0_171:                              ;   in Loop: Header=BB0_169 Depth=3
	s_or_b64 exec, exec, s[6:7]
	s_mov_b64 s[4:5], -1
	s_and_saveexec_b64 s[26:27], vcc
	s_cbranch_execnz .LBB0_181
.LBB0_172:                              ;   in Loop: Header=BB0_169 Depth=3
	s_or_b64 exec, exec, s[26:27]
	s_and_saveexec_b64 s[6:7], s[4:5]
	s_cbranch_execnz .LBB0_186
.LBB0_173:                              ;   in Loop: Header=BB0_169 Depth=3
	s_or_b64 exec, exec, s[6:7]
	s_mov_b64 s[4:5], -1
	s_and_saveexec_b64 s[26:27], vcc
	s_cbranch_execnz .LBB0_187
.LBB0_174:                              ;   in Loop: Header=BB0_169 Depth=3
	s_or_b64 exec, exec, s[26:27]
	s_and_saveexec_b64 s[6:7], s[4:5]
	s_cbranch_execz .LBB0_168
	s_branch .LBB0_192
.LBB0_175:                              ;   in Loop: Header=BB0_169 Depth=3
	s_mov_b64 s[28:29], 0
	s_mov_b64 s[38:39], 0
                                        ; implicit-def: $sgpr30_sgpr31
                                        ; implicit-def: $sgpr36_sgpr37
                                        ; implicit-def: $sgpr34_sgpr35
	s_branch .LBB0_177
.LBB0_176:                              ;   in Loop: Header=BB0_177 Depth=4
	s_or_b64 exec, exec, s[6:7]
	s_xor_b64 s[4:5], s[34:35], -1
	s_and_b64 s[6:7], exec, s[36:37]
	s_or_b64 s[28:29], s[6:7], s[28:29]
	s_andn2_b64 s[6:7], s[30:31], exec
	s_and_b64 s[4:5], s[4:5], exec
	s_or_b64 s[30:31], s[6:7], s[4:5]
	s_andn2_b64 exec, exec, s[28:29]
	s_cbranch_execz .LBB0_179
.LBB0_177:                              ;   Parent Loop BB0_41 Depth=1
                                        ;     Parent Loop BB0_138 Depth=2
                                        ;       Parent Loop BB0_169 Depth=3
                                        ; =>      This Inner Loop Header: Depth=4
	s_cmp_eq_u32 s38, 1
	s_cselect_b64 s[4:5], -1, 0
	s_cmp_eq_u32 s38, 2
	v_cndmask_b32_e64 v1, v16, v15, s[4:5]
	s_cselect_b64 s[6:7], -1, 0
	s_cmp_eq_u32 s38, 3
	v_cndmask_b32_e64 v1, v1, v14, s[6:7]
	;; [unrolled: 3-line block ×3, first 2 shown]
	s_cselect_b64 s[10:11], -1, 0
	v_cndmask_b32_e64 v1, v1, v12, s[10:11]
	v_lshl_add_u32 v1, v1, 2, v59
	buffer_load_dword v1, v1, s[0:3], 0 offen
	s_or_b64 s[34:35], s[34:35], exec
	s_or_b64 s[36:37], s[36:37], exec
	s_waitcnt vmcnt(0)
	v_add_u32_e32 v60, s41, v1
	v_ashrrev_i32_e32 v61, 31, v60
	v_lshlrev_b64 v[60:61], 2, v[60:61]
	v_mov_b32_e32 v1, s19
	v_add_co_u32_e64 v60, s[12:13], s18, v60
	v_addc_co_u32_e64 v61, s[12:13], v1, v61, s[12:13]
	global_load_dword v1, v[60:61], off
	v_cndmask_b32_e64 v60, v2, v3, s[4:5]
	v_cndmask_b32_e64 v60, v60, v4, s[6:7]
	;; [unrolled: 1-line block ×4, first 2 shown]
	s_waitcnt vmcnt(0)
	v_cmp_eq_u32_e64 s[4:5], v1, v60
	s_and_saveexec_b64 s[6:7], s[4:5]
	s_cbranch_execz .LBB0_176
; %bb.178:                              ;   in Loop: Header=BB0_177 Depth=4
	s_add_u32 s38, s38, 1
	v_cmp_eq_u32_e64 s[4:5], s38, v18
	s_addc_u32 s39, s39, 0
	s_andn2_b64 s[8:9], s[36:37], exec
	s_and_b64 s[4:5], s[4:5], exec
	s_andn2_b64 s[34:35], s[34:35], exec
	s_or_b64 s[36:37], s[8:9], s[4:5]
	s_branch .LBB0_176
.LBB0_179:                              ;   in Loop: Header=BB0_169 Depth=3
	s_or_b64 exec, exec, s[28:29]
	s_orn2_b64 s[4:5], s[30:31], exec
	s_or_b64 exec, exec, s[26:27]
	s_and_saveexec_b64 s[6:7], s[4:5]
	s_cbranch_execz .LBB0_171
.LBB0_180:                              ;   in Loop: Header=BB0_169 Depth=3
	s_add_i32 s20, s41, s54
	s_lshl_b64 s[4:5], s[20:21], 2
	s_add_u32 s4, s18, s4
	s_addc_u32 s5, s19, s5
	s_load_dword s8, s[4:5], 0x0
	s_waitcnt lgkmcnt(0)
	s_cmp_eq_u32 s8, 1
	s_cselect_b64 s[4:5], -1, 0
	v_cndmask_b32_e64 v1, v9, v10, s[4:5]
	s_cmp_eq_u32 s8, 0
	v_add_u32_e32 v1, 1, v1
	v_cndmask_b32_e64 v10, v10, v1, s[4:5]
	s_cselect_b64 s[4:5], -1, 0
	v_cndmask_b32_e64 v9, v9, v1, s[4:5]
	s_or_b64 exec, exec, s[6:7]
	s_mov_b64 s[4:5], -1
	s_and_saveexec_b64 s[26:27], vcc
	s_cbranch_execz .LBB0_172
.LBB0_181:                              ;   in Loop: Header=BB0_169 Depth=3
	s_add_i32 s20, s41, 45
	s_mov_b64 s[28:29], 0
	s_mov_b64 s[38:39], 0
                                        ; implicit-def: $sgpr30_sgpr31
                                        ; implicit-def: $sgpr36_sgpr37
                                        ; implicit-def: $sgpr34_sgpr35
	s_branch .LBB0_183
.LBB0_182:                              ;   in Loop: Header=BB0_183 Depth=4
	s_or_b64 exec, exec, s[6:7]
	s_xor_b64 s[4:5], s[34:35], -1
	s_and_b64 s[6:7], exec, s[36:37]
	s_or_b64 s[28:29], s[6:7], s[28:29]
	s_andn2_b64 s[6:7], s[30:31], exec
	s_and_b64 s[4:5], s[4:5], exec
	s_or_b64 s[30:31], s[6:7], s[4:5]
	s_andn2_b64 exec, exec, s[28:29]
	s_cbranch_execz .LBB0_185
.LBB0_183:                              ;   Parent Loop BB0_41 Depth=1
                                        ;     Parent Loop BB0_138 Depth=2
                                        ;       Parent Loop BB0_169 Depth=3
                                        ; =>      This Inner Loop Header: Depth=4
	s_cmp_eq_u32 s38, 1
	s_cselect_b64 s[4:5], -1, 0
	s_cmp_eq_u32 s38, 2
	v_cndmask_b32_e64 v1, v16, v15, s[4:5]
	s_cselect_b64 s[6:7], -1, 0
	s_cmp_eq_u32 s38, 3
	v_cndmask_b32_e64 v1, v1, v14, s[6:7]
	;; [unrolled: 3-line block ×3, first 2 shown]
	s_cselect_b64 s[10:11], -1, 0
	v_cndmask_b32_e64 v1, v1, v12, s[10:11]
	v_lshl_add_u32 v1, v1, 2, v59
	buffer_load_dword v1, v1, s[0:3], 0 offen
	s_or_b64 s[34:35], s[34:35], exec
	s_or_b64 s[36:37], s[36:37], exec
	s_waitcnt vmcnt(0)
	v_add_u32_e32 v60, s20, v1
	v_ashrrev_i32_e32 v61, 31, v60
	v_lshlrev_b64 v[60:61], 2, v[60:61]
	v_mov_b32_e32 v1, s19
	v_add_co_u32_e64 v60, s[12:13], s18, v60
	v_addc_co_u32_e64 v61, s[12:13], v1, v61, s[12:13]
	global_load_dword v1, v[60:61], off
	v_cndmask_b32_e64 v60, v2, v3, s[4:5]
	v_cndmask_b32_e64 v60, v60, v4, s[6:7]
	;; [unrolled: 1-line block ×4, first 2 shown]
	s_waitcnt vmcnt(0)
	v_cmp_eq_u32_e64 s[4:5], v1, v60
	s_and_saveexec_b64 s[6:7], s[4:5]
	s_cbranch_execz .LBB0_182
; %bb.184:                              ;   in Loop: Header=BB0_183 Depth=4
	s_add_u32 s38, s38, 1
	v_cmp_eq_u32_e64 s[4:5], s38, v18
	s_addc_u32 s39, s39, 0
	s_andn2_b64 s[8:9], s[36:37], exec
	s_and_b64 s[4:5], s[4:5], exec
	s_andn2_b64 s[34:35], s[34:35], exec
	s_or_b64 s[36:37], s[8:9], s[4:5]
	s_branch .LBB0_182
.LBB0_185:                              ;   in Loop: Header=BB0_169 Depth=3
	s_or_b64 exec, exec, s[28:29]
	s_orn2_b64 s[4:5], s[30:31], exec
	s_or_b64 exec, exec, s[26:27]
	s_and_saveexec_b64 s[6:7], s[4:5]
	s_cbranch_execz .LBB0_173
.LBB0_186:                              ;   in Loop: Header=BB0_169 Depth=3
	s_add_i32 s20, s41, s54
	s_lshl_b64 s[4:5], s[20:21], 2
	s_add_u32 s4, s18, s4
	s_addc_u32 s5, s19, s5
	s_load_dword s8, s[4:5], 0xb4
	s_waitcnt lgkmcnt(0)
	s_cmp_eq_u32 s8, 1
	s_cselect_b64 s[4:5], -1, 0
	v_cndmask_b32_e64 v1, v9, v10, s[4:5]
	s_cmp_eq_u32 s8, 0
	v_add_u32_e32 v1, 1, v1
	v_cndmask_b32_e64 v10, v10, v1, s[4:5]
	s_cselect_b64 s[4:5], -1, 0
	v_cndmask_b32_e64 v9, v9, v1, s[4:5]
	s_or_b64 exec, exec, s[6:7]
	s_mov_b64 s[4:5], -1
	s_and_saveexec_b64 s[26:27], vcc
	s_cbranch_execz .LBB0_174
.LBB0_187:                              ;   in Loop: Header=BB0_169 Depth=3
	s_add_i32 s20, s41, 0x5a
	s_mov_b64 s[28:29], 0
	s_mov_b64 s[38:39], 0
                                        ; implicit-def: $sgpr30_sgpr31
                                        ; implicit-def: $sgpr36_sgpr37
                                        ; implicit-def: $sgpr34_sgpr35
	s_branch .LBB0_189
.LBB0_188:                              ;   in Loop: Header=BB0_189 Depth=4
	s_or_b64 exec, exec, s[6:7]
	s_xor_b64 s[4:5], s[34:35], -1
	s_and_b64 s[6:7], exec, s[36:37]
	s_or_b64 s[28:29], s[6:7], s[28:29]
	s_andn2_b64 s[6:7], s[30:31], exec
	s_and_b64 s[4:5], s[4:5], exec
	s_or_b64 s[30:31], s[6:7], s[4:5]
	s_andn2_b64 exec, exec, s[28:29]
	s_cbranch_execz .LBB0_191
.LBB0_189:                              ;   Parent Loop BB0_41 Depth=1
                                        ;     Parent Loop BB0_138 Depth=2
                                        ;       Parent Loop BB0_169 Depth=3
                                        ; =>      This Inner Loop Header: Depth=4
	s_cmp_eq_u32 s38, 1
	s_cselect_b64 s[4:5], -1, 0
	s_cmp_eq_u32 s38, 2
	v_cndmask_b32_e64 v1, v16, v15, s[4:5]
	s_cselect_b64 s[6:7], -1, 0
	s_cmp_eq_u32 s38, 3
	v_cndmask_b32_e64 v1, v1, v14, s[6:7]
	;; [unrolled: 3-line block ×3, first 2 shown]
	s_cselect_b64 s[10:11], -1, 0
	v_cndmask_b32_e64 v1, v1, v12, s[10:11]
	v_lshl_add_u32 v1, v1, 2, v59
	buffer_load_dword v1, v1, s[0:3], 0 offen
	s_or_b64 s[34:35], s[34:35], exec
	s_or_b64 s[36:37], s[36:37], exec
	s_waitcnt vmcnt(0)
	v_add_u32_e32 v60, s20, v1
	v_ashrrev_i32_e32 v61, 31, v60
	v_lshlrev_b64 v[60:61], 2, v[60:61]
	v_mov_b32_e32 v1, s19
	v_add_co_u32_e64 v60, s[12:13], s18, v60
	v_addc_co_u32_e64 v61, s[12:13], v1, v61, s[12:13]
	global_load_dword v1, v[60:61], off
	v_cndmask_b32_e64 v60, v2, v3, s[4:5]
	v_cndmask_b32_e64 v60, v60, v4, s[6:7]
	;; [unrolled: 1-line block ×4, first 2 shown]
	s_waitcnt vmcnt(0)
	v_cmp_eq_u32_e64 s[4:5], v1, v60
	s_and_saveexec_b64 s[6:7], s[4:5]
	s_cbranch_execz .LBB0_188
; %bb.190:                              ;   in Loop: Header=BB0_189 Depth=4
	s_add_u32 s38, s38, 1
	v_cmp_eq_u32_e64 s[4:5], s38, v18
	s_addc_u32 s39, s39, 0
	s_andn2_b64 s[8:9], s[36:37], exec
	s_and_b64 s[4:5], s[4:5], exec
	s_andn2_b64 s[34:35], s[34:35], exec
	s_or_b64 s[36:37], s[8:9], s[4:5]
	s_branch .LBB0_188
.LBB0_191:                              ;   in Loop: Header=BB0_169 Depth=3
	s_or_b64 exec, exec, s[28:29]
	s_orn2_b64 s[4:5], s[30:31], exec
	s_or_b64 exec, exec, s[26:27]
	s_and_saveexec_b64 s[6:7], s[4:5]
	s_cbranch_execz .LBB0_168
.LBB0_192:                              ;   in Loop: Header=BB0_169 Depth=3
	s_add_i32 s20, s41, s54
	s_lshl_b64 s[4:5], s[20:21], 2
	s_add_u32 s4, s18, s4
	s_addc_u32 s5, s19, s5
	s_load_dword s8, s[4:5], 0x168
	s_waitcnt lgkmcnt(0)
	s_cmp_eq_u32 s8, 1
	s_cselect_b64 s[4:5], -1, 0
	v_cndmask_b32_e64 v1, v9, v10, s[4:5]
	s_cmp_eq_u32 s8, 0
	v_add_u32_e32 v1, 1, v1
	v_cndmask_b32_e64 v10, v10, v1, s[4:5]
	s_cselect_b64 s[4:5], -1, 0
	v_cndmask_b32_e64 v9, v9, v1, s[4:5]
	s_branch .LBB0_168
.LBB0_193:
	s_endpgm
	.section	.rodata,"a",@progbits
	.p2align	6, 0x0
	.amdhsa_kernel _Z14genScoreKerneliPfPKiPKf
		.amdhsa_group_segment_fixed_size 0
		.amdhsa_private_segment_fixed_size 192
		.amdhsa_kernarg_size 32
		.amdhsa_user_sgpr_count 6
		.amdhsa_user_sgpr_private_segment_buffer 1
		.amdhsa_user_sgpr_dispatch_ptr 0
		.amdhsa_user_sgpr_queue_ptr 0
		.amdhsa_user_sgpr_kernarg_segment_ptr 1
		.amdhsa_user_sgpr_dispatch_id 0
		.amdhsa_user_sgpr_flat_scratch_init 0
		.amdhsa_user_sgpr_private_segment_size 0
		.amdhsa_uses_dynamic_stack 0
		.amdhsa_system_sgpr_private_segment_wavefront_offset 1
		.amdhsa_system_sgpr_workgroup_id_x 1
		.amdhsa_system_sgpr_workgroup_id_y 0
		.amdhsa_system_sgpr_workgroup_id_z 0
		.amdhsa_system_sgpr_workgroup_info 0
		.amdhsa_system_vgpr_workitem_id 0
		.amdhsa_next_free_vgpr 64
		.amdhsa_next_free_sgpr 56
		.amdhsa_reserve_vcc 1
		.amdhsa_reserve_flat_scratch 0
		.amdhsa_float_round_mode_32 0
		.amdhsa_float_round_mode_16_64 0
		.amdhsa_float_denorm_mode_32 3
		.amdhsa_float_denorm_mode_16_64 3
		.amdhsa_dx10_clamp 1
		.amdhsa_ieee_mode 1
		.amdhsa_fp16_overflow 0
		.amdhsa_exception_fp_ieee_invalid_op 0
		.amdhsa_exception_fp_denorm_src 0
		.amdhsa_exception_fp_ieee_div_zero 0
		.amdhsa_exception_fp_ieee_overflow 0
		.amdhsa_exception_fp_ieee_underflow 0
		.amdhsa_exception_fp_ieee_inexact 0
		.amdhsa_exception_int_div_zero 0
	.end_amdhsa_kernel
	.text
.Lfunc_end0:
	.size	_Z14genScoreKerneliPfPKiPKf, .Lfunc_end0-_Z14genScoreKerneliPfPKiPKf
                                        ; -- End function
	.set _Z14genScoreKerneliPfPKiPKf.num_vgpr, 64
	.set _Z14genScoreKerneliPfPKiPKf.num_agpr, 0
	.set _Z14genScoreKerneliPfPKiPKf.numbered_sgpr, 56
	.set _Z14genScoreKerneliPfPKiPKf.num_named_barrier, 0
	.set _Z14genScoreKerneliPfPKiPKf.private_seg_size, 192
	.set _Z14genScoreKerneliPfPKiPKf.uses_vcc, 1
	.set _Z14genScoreKerneliPfPKiPKf.uses_flat_scratch, 0
	.set _Z14genScoreKerneliPfPKiPKf.has_dyn_sized_stack, 0
	.set _Z14genScoreKerneliPfPKiPKf.has_recursion, 0
	.set _Z14genScoreKerneliPfPKiPKf.has_indirect_call, 0
	.section	.AMDGPU.csdata,"",@progbits
; Kernel info:
; codeLenInByte = 7636
; TotalNumSgprs: 60
; NumVgprs: 64
; ScratchSize: 192
; MemoryBound: 0
; FloatMode: 240
; IeeeMode: 1
; LDSByteSize: 0 bytes/workgroup (compile time only)
; SGPRBlocks: 7
; VGPRBlocks: 15
; NumSGPRsForWavesPerEU: 60
; NumVGPRsForWavesPerEU: 64
; Occupancy: 4
; WaveLimiterHint : 0
; COMPUTE_PGM_RSRC2:SCRATCH_EN: 1
; COMPUTE_PGM_RSRC2:USER_SGPR: 6
; COMPUTE_PGM_RSRC2:TRAP_HANDLER: 0
; COMPUTE_PGM_RSRC2:TGID_X_EN: 1
; COMPUTE_PGM_RSRC2:TGID_Y_EN: 0
; COMPUTE_PGM_RSRC2:TGID_Z_EN: 0
; COMPUTE_PGM_RSRC2:TIDIG_COMP_CNT: 0
	.text
	.protected	_Z13computeKerneliiPKfPKbiiPfPi ; -- Begin function _Z13computeKerneliiPKfPKbiiPfPi
	.globl	_Z13computeKerneliiPKfPKbiiPfPi
	.p2align	8
	.type	_Z13computeKerneliiPKfPKbiiPfPi,@function
_Z13computeKerneliiPKfPKbiiPfPi:        ; @_Z13computeKerneliiPKfPKbiiPfPi
; %bb.0:
	s_load_dwordx4 s[12:15], s[4:5], 0x8
	v_mov_b32_e32 v1, 0
	s_add_u32 s0, s0, s7
	s_addc_u32 s1, s1, 0
	s_getpc_b64 s[8:9]
	s_add_u32 s8, s8, __const._Z13computeKerneliiPKfPKbiiPfPi.parent@rel32@lo+4
	s_addc_u32 s9, s9, __const._Z13computeKerneliiPKfPKbiiPfPi.parent@rel32@hi+12
	s_waitcnt lgkmcnt(0)
	global_load_ubyte v2, v1, s[14:15]
	s_load_dwordx4 s[8:11], s[8:9], 0x0
	buffer_store_dword v1, off, s[0:3], 0 offset:172
	buffer_store_dword v1, off, s[0:3], 0 offset:168
	buffer_store_dword v1, off, s[0:3], 0 offset:164
	buffer_store_dword v1, off, s[0:3], 0 offset:160
	buffer_store_dword v1, off, s[0:3], 0 offset:156
	buffer_store_dword v1, off, s[0:3], 0 offset:152
	buffer_store_dword v1, off, s[0:3], 0 offset:148
	buffer_store_dword v1, off, s[0:3], 0 offset:144
	buffer_store_dword v1, off, s[0:3], 0 offset:140
	buffer_store_dword v1, off, s[0:3], 0 offset:136
	buffer_store_dword v1, off, s[0:3], 0 offset:132
	buffer_store_dword v1, off, s[0:3], 0 offset:128
	buffer_store_dword v1, off, s[0:3], 0 offset:124
	buffer_store_dword v1, off, s[0:3], 0 offset:120
	buffer_store_dword v1, off, s[0:3], 0 offset:116
	buffer_store_dword v1, off, s[0:3], 0 offset:112
	buffer_store_dword v1, off, s[0:3], 0 offset:108
	buffer_store_dword v1, off, s[0:3], 0 offset:104
	buffer_store_dword v1, off, s[0:3], 0 offset:100
	buffer_store_dword v1, off, s[0:3], 0 offset:96
	buffer_store_dword v1, off, s[0:3], 0 offset:92
	buffer_store_dword v1, off, s[0:3], 0 offset:88
	buffer_store_dword v1, off, s[0:3], 0 offset:84
	buffer_store_dword v1, off, s[0:3], 0 offset:80
	buffer_store_dword v1, off, s[0:3], 0 offset:76
	buffer_store_dword v1, off, s[0:3], 0 offset:72
	buffer_store_dword v1, off, s[0:3], 0 offset:68
	buffer_store_dword v1, off, s[0:3], 0 offset:64
	buffer_store_dword v1, off, s[0:3], 0 offset:60
	buffer_store_dword v1, off, s[0:3], 0 offset:56
	buffer_store_dword v1, off, s[0:3], 0 offset:52
	buffer_store_dword v1, off, s[0:3], 0 offset:48
	buffer_store_dword v1, off, s[0:3], 0 offset:44
	buffer_store_dword v1, off, s[0:3], 0 offset:40
	buffer_store_dword v1, off, s[0:3], 0 offset:36
	buffer_store_dword v1, off, s[0:3], 0 offset:32
	buffer_store_dword v1, off, s[0:3], 0 offset:28
	buffer_store_dword v1, off, s[0:3], 0 offset:24
	buffer_store_dword v1, off, s[0:3], 0 offset:20
	buffer_store_dword v1, off, s[0:3], 0 offset:16
	buffer_store_dword v1, off, s[0:3], 0 offset:12
	buffer_store_dword v1, off, s[0:3], 0 offset:8
	buffer_store_dword v1, off, s[0:3], 0 offset:4
	buffer_store_dword v1, off, s[0:3], 0
	buffer_store_dword v1, off, s[0:3], 0 offset:176
	s_waitcnt lgkmcnt(0)
	v_mov_b32_e32 v3, s11
	buffer_store_dword v3, off, s[0:3], 0 offset:204
	v_mov_b32_e32 v3, s10
	buffer_store_dword v3, off, s[0:3], 0 offset:200
	;; [unrolled: 2-line block ×4, first 2 shown]
	buffer_store_dword v1, off, s[0:3], 0 offset:208
	s_waitcnt vmcnt(50)
	v_and_b32_e32 v2, 1, v2
	v_cmp_eq_u32_e32 vcc, 1, v2
	s_cbranch_vccz .LBB1_2
; %bb.1:
	s_or_b32 s8, 0, 8
	s_mov_b32 s7, 2
	buffer_store_dword v1, off, s[0:3], 0 offset:4
	global_load_ubyte v1, v1, s[14:15] offset:1
	s_waitcnt vmcnt(0)
	v_cmp_eq_u32_e32 vcc, 0, v1
	s_cbranch_vccz .LBB1_3
	s_branch .LBB1_4
.LBB1_2:
	s_or_b32 s8, 0, 4
	s_mov_b32 s7, 1
	global_load_ubyte v1, v1, s[14:15] offset:1
	s_waitcnt vmcnt(0)
	v_cmp_eq_u32_e32 vcc, 0, v1
	s_cbranch_vccnz .LBB1_4
.LBB1_3:
	v_mov_b32_e32 v1, 1
	s_add_i32 s7, s7, 1
	v_mov_b32_e32 v2, s8
	buffer_store_dword v1, v2, s[0:3], 0 offen
.LBB1_4:
	v_mov_b32_e32 v1, 0
	global_load_ubyte v2, v1, s[14:15] offset:2
	s_waitcnt vmcnt(0)
	v_cmp_eq_u32_e32 vcc, 0, v2
	s_cbranch_vccnz .LBB1_6
; %bb.5:
	s_lshl_b32 s8, s7, 2
	v_mov_b32_e32 v2, s8
	s_add_i32 s7, s7, 1
	v_mov_b32_e32 v3, 2
	buffer_store_dword v3, v2, s[0:3], 0 offen
.LBB1_6:
	global_load_ubyte v1, v1, s[14:15] offset:3
	s_waitcnt vmcnt(0)
	v_cmp_eq_u32_e32 vcc, 0, v1
	s_cbranch_vccnz .LBB1_8
; %bb.7:
	s_lshl_b32 s8, s7, 2
	v_mov_b32_e32 v1, s8
	s_add_i32 s7, s7, 1
	v_mov_b32_e32 v2, 3
	buffer_store_dword v2, v1, s[0:3], 0 offen
.LBB1_8:
	v_mov_b32_e32 v1, 0
	global_load_ubyte v2, v1, s[14:15] offset:4
	s_waitcnt vmcnt(0)
	v_cmp_eq_u32_e32 vcc, 0, v2
	s_cbranch_vccnz .LBB1_10
; %bb.9:
	s_lshl_b32 s8, s7, 2
	v_mov_b32_e32 v2, s8
	s_add_i32 s7, s7, 1
	v_mov_b32_e32 v3, 4
	buffer_store_dword v3, v2, s[0:3], 0 offen
.LBB1_10:
	global_load_ubyte v1, v1, s[14:15] offset:5
	s_waitcnt vmcnt(0)
	v_cmp_eq_u32_e32 vcc, 0, v1
	s_cbranch_vccnz .LBB1_12
; %bb.11:
	s_lshl_b32 s8, s7, 2
	v_mov_b32_e32 v1, s8
	s_add_i32 s7, s7, 1
	v_mov_b32_e32 v2, 5
	buffer_store_dword v2, v1, s[0:3], 0 offen
.LBB1_12:
	;; [unrolled: 23-line block ×21, first 2 shown]
	v_mov_b32_e32 v1, 0
	global_load_ubyte v1, v1, s[14:15] offset:44
	s_waitcnt vmcnt(0)
	v_cmp_eq_u32_e32 vcc, 0, v1
	s_cbranch_vccnz .LBB1_90
; %bb.89:
	s_lshl_b32 s8, s7, 2
	v_mov_b32_e32 v1, s8
	s_add_i32 s7, s7, 1
	v_mov_b32_e32 v2, 44
	buffer_store_dword v2, v1, s[0:3], 0 offen
.LBB1_90:
	s_load_dwordx2 s[10:11], s[4:5], 0x0
	s_mov_b32 s33, 0
	s_waitcnt lgkmcnt(0)
	s_cmp_gt_i32 s10, 0
	s_cbranch_scc0 .LBB1_169
; %bb.91:
	s_load_dwordx2 s[14:15], s[4:5], 0x18
	v_lshl_add_u32 v1, s6, 8, v0
	v_mul_lo_u32 v7, v1, s10
	v_mov_b32_e32 v2, 0xc0
	v_add_u32_e32 v6, 16, v2
	s_movk_i32 s34, 0xbc
	s_waitcnt lgkmcnt(0)
	s_mul_i32 s11, s14, s11
	v_mov_b32_e32 v5, 0xd8635fa9
	v_mov_b32_e32 v1, 0
	s_mov_b64 s[16:17], 0
	v_mov_b32_e32 v8, -1
	s_mov_b32 s35, 0
	v_mov_b32_e32 v9, 0xc0
	v_mov_b32_e32 v10, 0
	;; [unrolled: 1-line block ×5, first 2 shown]
                                        ; implicit-def: $sgpr18_sgpr19
	s_branch .LBB1_94
.LBB1_92:                               ;   in Loop: Header=BB1_94 Depth=1
	s_or_b64 exec, exec, s[8:9]
	s_add_i32 s33, s33, 1
	s_cmp_eq_u32 s33, s10
	s_cselect_b64 s[8:9], -1, 0
	s_andn2_b64 s[18:19], s[18:19], exec
	s_and_b64 s[8:9], s[8:9], exec
	s_or_b64 s[18:19], s[18:19], s[8:9]
.LBB1_93:                               ;   in Loop: Header=BB1_94 Depth=1
	s_or_b64 exec, exec, s[20:21]
	s_and_b64 s[8:9], exec, s[18:19]
	s_or_b64 s[16:17], s[8:9], s[16:17]
	s_andn2_b64 exec, exec, s[16:17]
	s_cbranch_execz .LBB1_168
.LBB1_94:                               ; =>This Loop Header: Depth=1
                                        ;     Child Loop BB1_98 Depth 2
                                        ;       Child Loop BB1_99 Depth 3
                                        ;       Child Loop BB1_101 Depth 3
                                        ;     Child Loop BB1_106 Depth 2
                                        ;     Child Loop BB1_110 Depth 2
	;; [unrolled: 1-line block ×3, first 2 shown]
                                        ;       Child Loop BB1_116 Depth 3
                                        ;         Child Loop BB1_117 Depth 4
                                        ;         Child Loop BB1_119 Depth 4
                                        ;       Child Loop BB1_123 Depth 3
                                        ;       Child Loop BB1_125 Depth 3
                                        ;     Child Loop BB1_130 Depth 2
                                        ;     Child Loop BB1_142 Depth 2
	;; [unrolled: 1-line block ×3, first 2 shown]
                                        ;       Child Loop BB1_146 Depth 3
                                        ;       Child Loop BB1_148 Depth 3
                                        ;     Child Loop BB1_154 Depth 2
                                        ;       Child Loop BB1_156 Depth 3
                                        ;         Child Loop BB1_157 Depth 4
                                        ;         Child Loop BB1_159 Depth 4
	v_add_u32_e32 v13, s33, v7
	v_cmp_gt_u32_e32 vcc, s15, v13
	s_or_b64 s[18:19], s[18:19], exec
	s_and_saveexec_b64 s[20:21], vcc
	s_cbranch_execz .LBB1_93
; %bb.95:                               ;   in Loop: Header=BB1_94 Depth=1
	v_cmp_ne_u32_e32 vcc, 0, v13
	s_and_saveexec_b64 s[8:9], vcc
	s_xor_b64 s[22:23], exec, s[8:9]
	s_cbranch_execz .LBB1_132
; %bb.96:                               ;   in Loop: Header=BB1_94 Depth=1
	v_mov_b32_e32 v14, 0
	v_cmp_lt_i32_e32 vcc, 0, v13
	v_mov_b32_e32 v11, 1
	s_and_saveexec_b64 s[8:9], vcc
	s_cbranch_execz .LBB1_104
; %bb.97:                               ;   in Loop: Header=BB1_94 Depth=1
	s_mov_b32 s26, 0
	s_mov_b32 s27, 1
	s_mov_b64 s[24:25], 0
.LBB1_98:                               ;   Parent Loop BB1_94 Depth=1
                                        ; =>  This Loop Header: Depth=2
                                        ;       Child Loop BB1_99 Depth 3
                                        ;       Child Loop BB1_101 Depth 3
	s_mov_b32 s28, 0
	s_mov_b32 s29, 1
.LBB1_99:                               ;   Parent Loop BB1_94 Depth=1
                                        ;     Parent Loop BB1_98 Depth=2
                                        ; =>    This Inner Loop Header: Depth=3
	s_add_i32 s30, s7, s28
	s_add_i32 s28, s28, -1
	s_add_i32 s31, s27, s28
	s_cmp_lg_u32 s31, 0
	s_mul_i32 s29, s29, s30
	s_cbranch_scc1 .LBB1_99
; %bb.100:                              ;   in Loop: Header=BB1_98 Depth=2
	s_mov_b32 s28, s27
.LBB1_101:                              ;   Parent Loop BB1_94 Depth=1
                                        ;     Parent Loop BB1_98 Depth=2
                                        ; =>    This Inner Loop Header: Depth=3
	s_abs_i32 s31, s28
	v_cvt_f32_u32_e32 v11, s31
	s_sub_i32 s36, 0, s31
	s_xor_b32 s30, s29, s28
	s_abs_i32 s29, s29
	v_rcp_iflag_f32_e32 v11, v11
	s_ashr_i32 s30, s30, 31
	v_mul_f32_e32 v11, 0x4f7ffffe, v11
	v_cvt_u32_f32_e32 v11, v11
	v_readfirstlane_b32 s37, v11
	s_mul_i32 s36, s36, s37
	s_mul_hi_u32 s36, s37, s36
	s_add_i32 s37, s37, s36
	s_mul_hi_u32 s36, s29, s37
	s_mul_i32 s37, s36, s31
	s_sub_i32 s29, s29, s37
	s_add_i32 s38, s36, 1
	s_sub_i32 s37, s29, s31
	s_cmp_ge_u32 s29, s31
	s_cselect_b32 s36, s38, s36
	s_cselect_b32 s29, s37, s29
	s_add_i32 s37, s36, 1
	s_cmp_ge_u32 s29, s31
	s_cselect_b32 s29, s37, s36
	s_xor_b32 s29, s29, s30
	s_add_i32 s28, s28, -1
	s_sub_i32 s29, s29, s30
	s_cmp_lg_u32 s28, 0
	s_cbranch_scc1 .LBB1_101
; %bb.102:                              ;   in Loop: Header=BB1_98 Depth=2
	s_add_i32 s26, s29, s26
	s_add_i32 s27, s27, 1
	v_cmp_ge_i32_e32 vcc, s26, v13
	s_or_b64 s[24:25], vcc, s[24:25]
	v_mov_b32_e32 v11, s27
	v_mov_b32_e32 v14, s26
	s_andn2_b64 exec, exec, s[24:25]
	s_cbranch_execnz .LBB1_98
; %bb.103:                              ;   in Loop: Header=BB1_94 Depth=1
	s_or_b64 exec, exec, s[24:25]
.LBB1_104:                              ;   in Loop: Header=BB1_94 Depth=1
	s_or_b64 exec, exec, s[8:9]
	v_add_u32_e32 v12, -1, v11
	v_mov_b32_e32 v16, 1
	v_cmp_lt_u32_e32 vcc, 1, v11
	s_and_saveexec_b64 s[24:25], vcc
	s_cbranch_execz .LBB1_108
; %bb.105:                              ;   in Loop: Header=BB1_94 Depth=1
	s_mov_b32 s28, 1
	s_mov_b64 s[26:27], 0
	v_mov_b32_e32 v15, v12
	s_mov_b32 s29, s7
.LBB1_106:                              ;   Parent Loop BB1_94 Depth=1
                                        ; =>  This Inner Loop Header: Depth=2
	v_add_u32_e32 v15, -1, v15
	s_mul_i32 s28, s28, s29
	s_add_i32 s29, s29, -1
	v_cmp_eq_u32_e64 s[8:9], 0, v15
	s_or_b64 s[26:27], s[8:9], s[26:27]
	v_mov_b32_e32 v16, s28
	s_andn2_b64 exec, exec, s[26:27]
	s_cbranch_execnz .LBB1_106
; %bb.107:                              ;   in Loop: Header=BB1_94 Depth=1
	s_or_b64 exec, exec, s[26:27]
.LBB1_108:                              ;   in Loop: Header=BB1_94 Depth=1
	s_or_b64 exec, exec, s[24:25]
	s_and_saveexec_b64 s[8:9], vcc
	s_cbranch_execz .LBB1_112
; %bb.109:                              ;   in Loop: Header=BB1_94 Depth=1
	s_mov_b64 s[24:25], 0
	v_mov_b32_e32 v15, v12
.LBB1_110:                              ;   Parent Loop BB1_94 Depth=1
                                        ; =>  This Inner Loop Header: Depth=2
	v_sub_u32_e32 v18, 0, v16
	v_sub_u32_e32 v19, 0, v15
	v_xor_b32_e32 v17, v16, v15
	v_max_i32_e32 v16, v16, v18
	v_max_i32_e32 v18, v15, v19
	v_cvt_f32_u32_e32 v19, v18
	v_sub_u32_e32 v20, 0, v18
	v_add_u32_e32 v15, -1, v15
	v_cmp_eq_u32_e32 vcc, 0, v15
	v_rcp_iflag_f32_e32 v19, v19
	s_or_b64 s[24:25], vcc, s[24:25]
	v_ashrrev_i32_e32 v17, 31, v17
	v_mul_f32_e32 v19, 0x4f7ffffe, v19
	v_cvt_u32_f32_e32 v19, v19
	v_mul_lo_u32 v20, v20, v19
	v_mul_hi_u32 v20, v19, v20
	v_add_u32_e32 v19, v19, v20
	v_mul_hi_u32 v19, v16, v19
	v_mul_lo_u32 v20, v19, v18
	v_add_u32_e32 v21, 1, v19
	v_sub_u32_e32 v16, v16, v20
	v_cmp_ge_u32_e32 vcc, v16, v18
	v_sub_u32_e32 v20, v16, v18
	v_cndmask_b32_e32 v19, v19, v21, vcc
	v_cndmask_b32_e32 v16, v16, v20, vcc
	v_add_u32_e32 v20, 1, v19
	v_cmp_ge_u32_e32 vcc, v16, v18
	v_cndmask_b32_e32 v16, v19, v20, vcc
	v_xor_b32_e32 v16, v16, v17
	v_sub_u32_e32 v16, v16, v17
	s_andn2_b64 exec, exec, s[24:25]
	s_cbranch_execnz .LBB1_110
; %bb.111:                              ;   in Loop: Header=BB1_94 Depth=1
	s_or_b64 exec, exec, s[24:25]
.LBB1_112:                              ;   in Loop: Header=BB1_94 Depth=1
	s_or_b64 exec, exec, s[8:9]
	v_sub_u32_e32 v13, v13, v14
	v_add_u32_e32 v14, v16, v13
	v_cmp_lt_i32_e32 vcc, 2, v11
	v_mov_b32_e32 v13, 0
	v_mov_b32_e32 v15, 0
	s_and_saveexec_b64 s[8:9], vcc
	s_cbranch_execz .LBB1_128
; %bb.113:                              ;   in Loop: Header=BB1_94 Depth=1
	v_add_u32_e32 v13, -2, v11
	s_mov_b32 s36, 0
	s_mov_b64 s[24:25], 0
	v_mov_b32_e32 v15, 0
	v_mov_b32_e32 v16, s7
	;; [unrolled: 1-line block ×3, first 2 shown]
.LBB1_114:                              ;   Parent Loop BB1_94 Depth=1
                                        ; =>  This Loop Header: Depth=2
                                        ;       Child Loop BB1_116 Depth 3
                                        ;         Child Loop BB1_117 Depth 4
                                        ;         Child Loop BB1_119 Depth 4
                                        ;       Child Loop BB1_123 Depth 3
                                        ;       Child Loop BB1_125 Depth 3
	v_cmp_lt_i32_e32 vcc, 0, v14
	v_add_u32_e32 v12, -1, v12
	v_mov_b32_e32 v19, 0
	v_mov_b32_e32 v18, 0
	s_and_saveexec_b64 s[26:27], vcc
	s_cbranch_execz .LBB1_122
; %bb.115:                              ;   in Loop: Header=BB1_114 Depth=2
	v_mov_b32_e32 v18, 0
	s_mov_b32 s37, 1
	s_mov_b64 s[28:29], 0
.LBB1_116:                              ;   Parent Loop BB1_94 Depth=1
                                        ;     Parent Loop BB1_114 Depth=2
                                        ; =>    This Loop Header: Depth=3
                                        ;         Child Loop BB1_117 Depth 4
                                        ;         Child Loop BB1_119 Depth 4
	v_subrev_u32_e32 v19, s37, v16
	v_mov_b32_e32 v20, 1
	s_mov_b64 s[30:31], 0
	v_mov_b32_e32 v21, v17
.LBB1_117:                              ;   Parent Loop BB1_94 Depth=1
                                        ;     Parent Loop BB1_114 Depth=2
                                        ;       Parent Loop BB1_116 Depth=3
                                        ; =>      This Inner Loop Header: Depth=4
	v_mul_lo_u32 v20, v20, v19
	v_add_u32_e32 v21, -1, v21
	v_cmp_eq_u32_e32 vcc, 0, v21
	s_or_b64 s[30:31], vcc, s[30:31]
	v_add_u32_e32 v19, -1, v19
	s_andn2_b64 exec, exec, s[30:31]
	s_cbranch_execnz .LBB1_117
; %bb.118:                              ;   in Loop: Header=BB1_116 Depth=3
	s_or_b64 exec, exec, s[30:31]
	s_mov_b64 s[30:31], 0
	v_mov_b32_e32 v19, v12
.LBB1_119:                              ;   Parent Loop BB1_94 Depth=1
                                        ;     Parent Loop BB1_114 Depth=2
                                        ;       Parent Loop BB1_116 Depth=3
                                        ; =>      This Inner Loop Header: Depth=4
	v_sub_u32_e32 v22, 0, v20
	v_sub_u32_e32 v23, 0, v19
	v_xor_b32_e32 v21, v20, v19
	v_max_i32_e32 v20, v20, v22
	v_max_i32_e32 v22, v19, v23
	v_cvt_f32_u32_e32 v23, v22
	v_sub_u32_e32 v24, 0, v22
	v_add_u32_e32 v19, -1, v19
	v_cmp_eq_u32_e32 vcc, 0, v19
	v_rcp_iflag_f32_e32 v23, v23
	s_or_b64 s[30:31], vcc, s[30:31]
	v_ashrrev_i32_e32 v21, 31, v21
	v_mul_f32_e32 v23, 0x4f7ffffe, v23
	v_cvt_u32_f32_e32 v23, v23
	v_mul_lo_u32 v24, v24, v23
	v_mul_hi_u32 v24, v23, v24
	v_add_u32_e32 v23, v23, v24
	v_mul_hi_u32 v23, v20, v23
	v_mul_lo_u32 v24, v23, v22
	v_add_u32_e32 v25, 1, v23
	v_sub_u32_e32 v20, v20, v24
	v_cmp_ge_u32_e32 vcc, v20, v22
	v_sub_u32_e32 v24, v20, v22
	v_cndmask_b32_e32 v23, v23, v25, vcc
	v_cndmask_b32_e32 v20, v20, v24, vcc
	v_add_u32_e32 v24, 1, v23
	v_cmp_ge_u32_e32 vcc, v20, v22
	v_cndmask_b32_e32 v20, v23, v24, vcc
	v_xor_b32_e32 v20, v20, v21
	v_sub_u32_e32 v20, v20, v21
	s_andn2_b64 exec, exec, s[30:31]
	s_cbranch_execnz .LBB1_119
; %bb.120:                              ;   in Loop: Header=BB1_116 Depth=3
	s_or_b64 exec, exec, s[30:31]
	v_add_u32_e32 v18, v20, v18
	s_add_i32 s30, s37, 1
	v_cmp_ge_i32_e32 vcc, v18, v14
	s_or_b64 s[28:29], vcc, s[28:29]
	v_mov_b32_e32 v19, s37
	s_mov_b32 s37, s30
	s_andn2_b64 exec, exec, s[28:29]
	s_cbranch_execnz .LBB1_116
; %bb.121:                              ;   in Loop: Header=BB1_114 Depth=2
	s_or_b64 exec, exec, s[28:29]
.LBB1_122:                              ;   in Loop: Header=BB1_114 Depth=2
	s_or_b64 exec, exec, s[26:27]
	v_sub_u32_e32 v16, v16, v19
	v_mov_b32_e32 v21, 1
	s_mov_b32 s28, 0
	s_mov_b64 s[26:27], 0
.LBB1_123:                              ;   Parent Loop BB1_94 Depth=1
                                        ;     Parent Loop BB1_114 Depth=2
                                        ; =>    This Inner Loop Header: Depth=3
	v_add_u32_e32 v20, s28, v16
	s_add_i32 s28, s28, -1
	v_mul_lo_u32 v21, v21, v20
	v_add_u32_e32 v20, s28, v17
	v_cmp_eq_u32_e32 vcc, 0, v20
	s_or_b64 s[26:27], vcc, s[26:27]
	s_andn2_b64 exec, exec, s[26:27]
	s_cbranch_execnz .LBB1_123
; %bb.124:                              ;   in Loop: Header=BB1_114 Depth=2
	s_or_b64 exec, exec, s[26:27]
	s_mov_b64 s[26:27], 0
	v_mov_b32_e32 v20, v12
.LBB1_125:                              ;   Parent Loop BB1_94 Depth=1
                                        ;     Parent Loop BB1_114 Depth=2
                                        ; =>    This Inner Loop Header: Depth=3
	v_sub_u32_e32 v23, 0, v21
	v_sub_u32_e32 v24, 0, v20
	v_xor_b32_e32 v22, v21, v20
	v_max_i32_e32 v21, v21, v23
	v_max_i32_e32 v23, v20, v24
	v_cvt_f32_u32_e32 v24, v23
	v_sub_u32_e32 v25, 0, v23
	v_add_u32_e32 v20, -1, v20
	v_cmp_eq_u32_e32 vcc, 0, v20
	v_rcp_iflag_f32_e32 v24, v24
	s_or_b64 s[26:27], vcc, s[26:27]
	v_ashrrev_i32_e32 v22, 31, v22
	v_mul_f32_e32 v24, 0x4f7ffffe, v24
	v_cvt_u32_f32_e32 v24, v24
	v_mul_lo_u32 v25, v25, v24
	v_mul_hi_u32 v25, v24, v25
	v_add_u32_e32 v24, v24, v25
	v_mul_hi_u32 v24, v21, v24
	v_mul_lo_u32 v25, v24, v23
	v_add_u32_e32 v26, 1, v24
	v_sub_u32_e32 v21, v21, v25
	v_cmp_ge_u32_e32 vcc, v21, v23
	v_sub_u32_e32 v25, v21, v23
	v_cndmask_b32_e32 v24, v24, v26, vcc
	v_cndmask_b32_e32 v21, v21, v25, vcc
	v_add_u32_e32 v25, 1, v24
	v_cmp_ge_u32_e32 vcc, v21, v23
	v_cndmask_b32_e32 v21, v24, v25, vcc
	v_xor_b32_e32 v21, v21, v22
	v_sub_u32_e32 v21, v21, v22
	s_andn2_b64 exec, exec, s[26:27]
	s_cbranch_execnz .LBB1_125
; %bb.126:                              ;   in Loop: Header=BB1_114 Depth=2
	s_or_b64 exec, exec, s[26:27]
	s_add_i32 s26, s36, 1
	v_sub_u32_e32 v14, v14, v18
	v_add_u32_e32 v15, v19, v15
	s_lshl_b32 s27, s36, 2
	v_mov_b32_e32 v19, 0xc0
	v_cmp_eq_u32_e32 vcc, s26, v13
	v_add_u32_e32 v14, v21, v14
	v_add_u32_e32 v18, s27, v19
	v_add_u32_e32 v17, -1, v17
	s_or_b64 s[24:25], vcc, s[24:25]
	s_mov_b32 s36, s26
	buffer_store_dword v15, v18, s[0:3], 0 offen
	s_andn2_b64 exec, exec, s[24:25]
	s_cbranch_execnz .LBB1_114
; %bb.127:                              ;   in Loop: Header=BB1_94 Depth=1
	s_or_b64 exec, exec, s[24:25]
.LBB1_128:                              ;   in Loop: Header=BB1_94 Depth=1
	s_or_b64 exec, exec, s[8:9]
	v_add_u32_e32 v12, v15, v14
	v_lshl_add_u32 v14, v13, 2, v9
	v_cmp_gt_u32_e32 vcc, 3, v13
	buffer_store_dword v12, v14, s[0:3], 0 offen
	s_and_saveexec_b64 s[8:9], vcc
	s_cbranch_execz .LBB1_131
; %bb.129:                              ;   in Loop: Header=BB1_94 Depth=1
	v_max_i32_e32 v12, 2, v11
	v_lshl_add_u32 v11, v12, 2, s34
	v_add_u32_e32 v12, -3, v12
	s_mov_b64 s[24:25], 0
.LBB1_130:                              ;   Parent Loop BB1_94 Depth=1
                                        ; =>  This Inner Loop Header: Depth=2
	v_add_u32_e32 v12, 1, v12
	v_cmp_lt_u32_e32 vcc, 1, v12
	buffer_store_dword v8, v11, s[0:3], 0 offen
	s_or_b64 s[24:25], vcc, s[24:25]
	v_add_u32_e32 v11, 4, v11
	s_andn2_b64 exec, exec, s[24:25]
	s_cbranch_execnz .LBB1_130
.LBB1_131:                              ;   in Loop: Header=BB1_94 Depth=1
	s_or_b64 exec, exec, s[8:9]
.LBB1_132:                              ;   in Loop: Header=BB1_94 Depth=1
	s_andn2_saveexec_b64 s[8:9], s[22:23]
	s_cbranch_execz .LBB1_134
; %bb.133:                              ;   in Loop: Header=BB1_94 Depth=1
	buffer_store_dword v8, off, s[0:3], 0 offset:192
	buffer_store_dword v8, off, s[0:3], 0 offset:196
	;; [unrolled: 1-line block ×4, first 2 shown]
.LBB1_134:                              ;   in Loop: Header=BB1_94 Depth=1
	s_or_b64 exec, exec, s[8:9]
	buffer_load_dword v12, off, s[0:3], 0 offset:192
                                        ; implicit-def: $vgpr11
	s_waitcnt vmcnt(0)
	v_cmp_lt_i32_e32 vcc, -1, v12
	s_and_saveexec_b64 s[8:9], vcc
	s_xor_b64 s[22:23], exec, s[8:9]
	s_cbranch_execz .LBB1_164
; %bb.135:                              ;   in Loop: Header=BB1_94 Depth=1
	v_lshl_add_u32 v11, v12, 2, v10
	buffer_load_dword v12, v11, s[0:3], 0 offen
	buffer_load_dword v13, off, s[0:3], 0 offset:196
	v_mov_b32_e32 v15, 0xc0
	v_or_b32_e32 v14, 4, v15
	v_mov_b32_e32 v11, 1
	s_waitcnt vmcnt(1)
	v_cmp_ge_i32_e32 vcc, s14, v12
	v_addc_co_u32_e32 v12, vcc, 0, v12, vcc
	s_waitcnt vmcnt(0)
	v_cmp_lt_i32_e32 vcc, -1, v13
	buffer_store_dword v12, off, s[0:3], 0 offset:192
	v_mov_b32_e32 v12, v14
	s_and_saveexec_b64 s[24:25], vcc
	s_cbranch_execz .LBB1_141
; %bb.136:                              ;   in Loop: Header=BB1_94 Depth=1
	v_lshl_add_u32 v11, v13, 2, s35
	buffer_load_dword v12, v11, s[0:3], 0 offen
	buffer_load_dword v13, off, s[0:3], 0 offset:200
	v_mov_b32_e32 v15, 0xc0
	v_or_b32_e32 v14, 8, v15
	v_mov_b32_e32 v11, 2
	s_waitcnt vmcnt(1)
	v_cmp_ge_i32_e64 s[8:9], s14, v12
	v_addc_co_u32_e64 v12, s[8:9], 0, v12, s[8:9]
	s_waitcnt vmcnt(0)
	v_cmp_lt_i32_e64 s[8:9], -1, v13
	buffer_store_dword v12, off, s[0:3], 0 offset:196
	v_mov_b32_e32 v12, v14
	s_and_saveexec_b64 s[26:27], s[8:9]
	s_cbranch_execz .LBB1_140
; %bb.137:                              ;   in Loop: Header=BB1_94 Depth=1
	v_lshl_add_u32 v11, v13, 2, v10
	buffer_load_dword v12, v11, s[0:3], 0 offen
	buffer_load_dword v13, off, s[0:3], 0 offset:204
	v_mov_b32_e32 v15, 0xc0
	v_or_b32_e32 v14, 12, v15
	v_mov_b32_e32 v11, 3
	s_waitcnt vmcnt(1)
	v_cmp_ge_i32_e64 s[8:9], s14, v12
	v_addc_co_u32_e64 v12, s[8:9], 0, v12, s[8:9]
	s_waitcnt vmcnt(0)
	v_cmp_lt_i32_e64 s[8:9], -1, v13
	buffer_store_dword v12, off, s[0:3], 0 offset:200
	v_mov_b32_e32 v12, v14
	s_and_saveexec_b64 s[28:29], s[8:9]
	s_cbranch_execz .LBB1_139
; %bb.138:                              ;   in Loop: Header=BB1_94 Depth=1
	v_lshl_add_u32 v11, v13, 2, v10
	buffer_load_dword v12, v11, s[0:3], 0 offen
	v_mov_b32_e32 v11, 4
	s_waitcnt vmcnt(0)
	v_cmp_ge_i32_e64 s[8:9], s14, v12
	v_addc_co_u32_e64 v12, s[8:9], 0, v12, s[8:9]
	buffer_store_dword v12, off, s[0:3], 0 offset:204
	v_mov_b32_e32 v12, v6
.LBB1_139:                              ;   in Loop: Header=BB1_94 Depth=1
	s_or_b64 exec, exec, s[28:29]
.LBB1_140:                              ;   in Loop: Header=BB1_94 Depth=1
	s_or_b64 exec, exec, s[26:27]
.LBB1_141:                              ;   in Loop: Header=BB1_94 Depth=1
	s_or_b64 exec, exec, s[24:25]
	v_add_u32_e32 v13, 1, v11
	v_lshl_add_u32 v14, v11, 2, s34
	s_mov_b64 s[24:25], 0
.LBB1_142:                              ;   Parent Loop BB1_94 Depth=1
                                        ; =>  This Inner Loop Header: Depth=2
	buffer_load_dword v15, v14, s[0:3], 0 offen
	v_add_u32_e32 v13, -1, v13
	v_cmp_gt_u32_e64 s[8:9], 2, v13
	s_or_b64 s[24:25], s[8:9], s[24:25]
	s_waitcnt vmcnt(0)
	buffer_store_dword v15, v14, s[0:3], 0 offen offset:4
	v_add_u32_e32 v14, -4, v14
	s_andn2_b64 exec, exec, s[24:25]
	s_cbranch_execnz .LBB1_142
; %bb.143:                              ;   in Loop: Header=BB1_94 Depth=1
	s_or_b64 exec, exec, s[24:25]
	v_mov_b32_e32 v13, 0
	buffer_store_dword v13, off, s[0:3], 0 offset:192
	s_and_saveexec_b64 s[24:25], vcc
	s_cbranch_execz .LBB1_151
; %bb.144:                              ;   in Loop: Header=BB1_94 Depth=1
	s_mov_b32 s28, 1
	s_mov_b32 s29, 0
	s_mov_b64 s[26:27], 0
.LBB1_145:                              ;   Parent Loop BB1_94 Depth=1
                                        ; =>  This Loop Header: Depth=2
                                        ;       Child Loop BB1_146 Depth 3
                                        ;       Child Loop BB1_148 Depth 3
	s_mov_b32 s8, 44
	s_mov_b32 s9, 1
.LBB1_146:                              ;   Parent Loop BB1_94 Depth=1
                                        ;     Parent Loop BB1_145 Depth=2
                                        ; =>    This Inner Loop Header: Depth=3
	s_mul_i32 s9, s9, s8
	s_add_i32 s8, s8, -1
	s_add_i32 s30, s28, s8
	s_cmp_lg_u32 s30, 44
	s_cbranch_scc1 .LBB1_146
; %bb.147:                              ;   in Loop: Header=BB1_145 Depth=2
	s_mov_b32 s8, s28
.LBB1_148:                              ;   Parent Loop BB1_94 Depth=1
                                        ;     Parent Loop BB1_145 Depth=2
                                        ; =>    This Inner Loop Header: Depth=3
	s_abs_i32 s31, s8
	v_cvt_f32_u32_e32 v13, s31
	s_sub_i32 s36, 0, s31
	s_xor_b32 s30, s9, s8
	s_abs_i32 s9, s9
	v_rcp_iflag_f32_e32 v13, v13
	s_ashr_i32 s30, s30, 31
	v_mul_f32_e32 v13, 0x4f7ffffe, v13
	v_cvt_u32_f32_e32 v13, v13
	v_readfirstlane_b32 s37, v13
	s_mul_i32 s36, s36, s37
	s_mul_hi_u32 s36, s37, s36
	s_add_i32 s37, s37, s36
	s_mul_hi_u32 s36, s9, s37
	s_mul_i32 s37, s36, s31
	s_sub_i32 s9, s9, s37
	s_add_i32 s38, s36, 1
	s_sub_i32 s37, s9, s31
	s_cmp_ge_u32 s9, s31
	s_cselect_b32 s36, s38, s36
	s_cselect_b32 s9, s37, s9
	s_add_i32 s37, s36, 1
	s_cmp_ge_u32 s9, s31
	s_cselect_b32 s9, s37, s36
	s_xor_b32 s9, s9, s30
	s_add_i32 s8, s8, -1
	s_sub_i32 s9, s9, s30
	s_cmp_lg_u32 s8, 0
	s_cbranch_scc1 .LBB1_148
; %bb.149:                              ;   in Loop: Header=BB1_145 Depth=2
	s_add_i32 s28, s28, 1
	s_add_i32 s29, s9, s29
	v_cmp_eq_u32_e64 s[8:9], s28, v11
	s_or_b64 s[26:27], s[8:9], s[26:27]
	v_mov_b32_e32 v13, s29
	s_andn2_b64 exec, exec, s[26:27]
	s_cbranch_execnz .LBB1_145
; %bb.150:                              ;   in Loop: Header=BB1_94 Depth=1
	s_or_b64 exec, exec, s[26:27]
.LBB1_151:                              ;   in Loop: Header=BB1_94 Depth=1
	s_or_b64 exec, exec, s[24:25]
	s_and_saveexec_b64 s[8:9], vcc
	s_cbranch_execz .LBB1_163
; %bb.152:                              ;   in Loop: Header=BB1_94 Depth=1
	s_mov_b32 s36, 1
	s_mov_b64 s[24:25], 0
	s_branch .LBB1_154
.LBB1_153:                              ;   in Loop: Header=BB1_154 Depth=2
	s_or_b64 exec, exec, s[26:27]
	s_add_i32 s36, s36, 1
	v_cmp_eq_u32_e32 vcc, s36, v11
	s_or_b64 s[24:25], vcc, s[24:25]
	s_andn2_b64 exec, exec, s[24:25]
	s_cbranch_execz .LBB1_162
.LBB1_154:                              ;   Parent Loop BB1_94 Depth=1
                                        ; =>  This Loop Header: Depth=2
                                        ;       Child Loop BB1_156 Depth 3
                                        ;         Child Loop BB1_157 Depth 4
                                        ;         Child Loop BB1_159 Depth 4
	s_lshl_b32 s26, s36, 2
	s_addk_i32 s26, 0xc0
	s_add_i32 s27, s26, -4
	v_mov_b32_e32 v16, s26
	v_mov_b32_e32 v15, s27
	buffer_load_dword v17, v16, s[0:3], 0 offen
	buffer_load_dword v14, v15, s[0:3], 0 offen
	s_waitcnt vmcnt(1)
	v_add_u32_e32 v15, -1, v17
	s_waitcnt vmcnt(0)
	v_cmp_lt_i32_e32 vcc, v14, v15
	s_and_saveexec_b64 s[26:27], vcc
	s_cbranch_execz .LBB1_153
; %bb.155:                              ;   in Loop: Header=BB1_154 Depth=2
	v_subrev_u32_e32 v16, s36, v11
	s_mov_b64 s[28:29], 0
.LBB1_156:                              ;   Parent Loop BB1_94 Depth=1
                                        ;     Parent Loop BB1_154 Depth=2
                                        ; =>    This Loop Header: Depth=3
                                        ;         Child Loop BB1_157 Depth 4
                                        ;         Child Loop BB1_159 Depth 4
	v_sub_u32_e32 v17, 43, v14
	v_mov_b32_e32 v18, 1
	s_mov_b64 s[30:31], 0
	v_mov_b32_e32 v19, v11
.LBB1_157:                              ;   Parent Loop BB1_94 Depth=1
                                        ;     Parent Loop BB1_154 Depth=2
                                        ;       Parent Loop BB1_156 Depth=3
                                        ; =>      This Inner Loop Header: Depth=4
	v_mul_lo_u32 v18, v18, v17
	v_add_u32_e32 v19, -1, v19
	v_cmp_eq_u32_e32 vcc, s36, v19
	s_or_b64 s[30:31], vcc, s[30:31]
	v_add_u32_e32 v17, -1, v17
	s_andn2_b64 exec, exec, s[30:31]
	s_cbranch_execnz .LBB1_157
; %bb.158:                              ;   in Loop: Header=BB1_156 Depth=3
	s_or_b64 exec, exec, s[30:31]
	s_mov_b64 s[30:31], 0
	v_mov_b32_e32 v17, v16
.LBB1_159:                              ;   Parent Loop BB1_94 Depth=1
                                        ;     Parent Loop BB1_154 Depth=2
                                        ;       Parent Loop BB1_156 Depth=3
                                        ; =>      This Inner Loop Header: Depth=4
	v_sub_u32_e32 v20, 0, v18
	v_sub_u32_e32 v21, 0, v17
	v_xor_b32_e32 v19, v18, v17
	v_max_i32_e32 v18, v18, v20
	v_max_i32_e32 v20, v17, v21
	v_cvt_f32_u32_e32 v21, v20
	v_sub_u32_e32 v22, 0, v20
	v_add_u32_e32 v17, -1, v17
	v_cmp_eq_u32_e32 vcc, 0, v17
	v_rcp_iflag_f32_e32 v21, v21
	s_or_b64 s[30:31], vcc, s[30:31]
	v_ashrrev_i32_e32 v19, 31, v19
	v_mul_f32_e32 v21, 0x4f7ffffe, v21
	v_cvt_u32_f32_e32 v21, v21
	v_mul_lo_u32 v22, v22, v21
	v_mul_hi_u32 v22, v21, v22
	v_add_u32_e32 v21, v21, v22
	v_mul_hi_u32 v21, v18, v21
	v_mul_lo_u32 v22, v21, v20
	v_add_u32_e32 v23, 1, v21
	v_sub_u32_e32 v18, v18, v22
	v_cmp_ge_u32_e32 vcc, v18, v20
	v_sub_u32_e32 v22, v18, v20
	v_cndmask_b32_e32 v21, v21, v23, vcc
	v_cndmask_b32_e32 v18, v18, v22, vcc
	v_add_u32_e32 v22, 1, v21
	v_cmp_ge_u32_e32 vcc, v18, v20
	v_cndmask_b32_e32 v18, v21, v22, vcc
	v_xor_b32_e32 v18, v18, v19
	v_sub_u32_e32 v18, v18, v19
	s_andn2_b64 exec, exec, s[30:31]
	s_cbranch_execnz .LBB1_159
; %bb.160:                              ;   in Loop: Header=BB1_156 Depth=3
	s_or_b64 exec, exec, s[30:31]
	v_add_u32_e32 v14, 1, v14
	v_cmp_ge_i32_e32 vcc, v14, v15
	s_or_b64 s[28:29], vcc, s[28:29]
	v_add_u32_e32 v13, v18, v13
	s_andn2_b64 exec, exec, s[28:29]
	s_cbranch_execnz .LBB1_156
; %bb.161:                              ;   in Loop: Header=BB1_154 Depth=2
	s_or_b64 exec, exec, s[28:29]
	s_branch .LBB1_153
.LBB1_162:                              ;   in Loop: Header=BB1_94 Depth=1
	s_or_b64 exec, exec, s[24:25]
.LBB1_163:                              ;   in Loop: Header=BB1_94 Depth=1
	s_or_b64 exec, exec, s[8:9]
	v_add_u32_e32 v11, -4, v12
	buffer_load_dword v14, v12, s[0:3], 0 offen
	buffer_load_dword v15, v11, s[0:3], 0 offen
	s_waitcnt vmcnt(1)
	v_add_u32_e32 v11, v14, v13
	s_waitcnt vmcnt(0)
	v_sub_u32_e32 v11, v11, v15
.LBB1_164:                              ;   in Loop: Header=BB1_94 Depth=1
	s_andn2_saveexec_b64 s[8:9], s[22:23]
	s_cbranch_execz .LBB1_166
; %bb.165:                              ;   in Loop: Header=BB1_94 Depth=1
	v_mov_b32_e32 v11, 0
	buffer_store_dword v11, off, s[0:3], 0 offset:192
.LBB1_166:                              ;   in Loop: Header=BB1_94 Depth=1
	s_or_b64 exec, exec, s[8:9]
	v_add_u32_e32 v11, s11, v11
	v_ashrrev_i32_e32 v12, 31, v11
	v_lshlrev_b64 v[11:12], 2, v[11:12]
	v_mov_b32_e32 v13, s13
	v_add_co_u32_e32 v11, vcc, s12, v11
	v_addc_co_u32_e32 v12, vcc, v13, v12, vcc
	global_load_dword v11, v[11:12], off
	s_waitcnt vmcnt(0)
	v_cmp_gt_f32_e32 vcc, v11, v5
	s_and_saveexec_b64 s[8:9], vcc
	s_cbranch_execz .LBB1_92
; %bb.167:                              ;   in Loop: Header=BB1_94 Depth=1
	buffer_load_dword v1, off, s[0:3], 0 offset:196
	buffer_load_dword v2, off, s[0:3], 0 offset:200
	;; [unrolled: 1-line block ×4, first 2 shown]
	v_mov_b32_e32 v5, v11
	s_branch .LBB1_92
.LBB1_168:
	s_or_b64 exec, exec, s[16:17]
	s_branch .LBB1_170
.LBB1_169:
	v_mov_b32_e32 v4, 0
	v_mov_b32_e32 v5, 0xd8635fa9
	;; [unrolled: 1-line block ×5, first 2 shown]
.LBB1_170:
	v_cvt_f32_u32_e32 v7, v0
	s_movk_i32 s7, 0x80
	v_lshl_add_u32 v8, v0, 2, 0
	v_cmp_gt_u32_e32 vcc, s7, v0
	ds_write_b32 v8, v5
	s_waitcnt vmcnt(0) lgkmcnt(0)
	s_barrier
	s_and_saveexec_b64 s[14:15], vcc
	s_cbranch_execz .LBB1_175
; %bb.171:
	ds_read2st64_b32 v[5:6], v8 offset1:2
	s_mov_b64 s[12:13], -1
	s_waitcnt lgkmcnt(0)
	v_cmp_ngt_f32_e64 s[8:9], v6, v5
	v_cmp_ngt_f32_e64 s[10:11], 0, v6
	v_cmp_gt_f32_e32 vcc, 0, v6
	s_or_b64 s[10:11], s[10:11], s[8:9]
	s_mov_b64 s[8:9], 0
	s_and_saveexec_b64 s[16:17], s[10:11]
	s_cbranch_execnz .LBB1_218
; %bb.172:
	s_or_b64 exec, exec, s[16:17]
	v_mov_b32_e32 v5, v7
	s_and_saveexec_b64 s[10:11], s[12:13]
	s_cbranch_execnz .LBB1_223
.LBB1_173:
	s_or_b64 exec, exec, s[10:11]
	s_and_b64 exec, exec, s[8:9]
.LBB1_174:
	ds_write_b32 v8, v5 offset:512
.LBB1_175:
	s_or_b64 exec, exec, s[14:15]
	v_cmp_gt_u32_e32 vcc, 64, v0
	s_waitcnt lgkmcnt(0)
	s_barrier
	s_and_saveexec_b64 s[14:15], vcc
	s_cbranch_execz .LBB1_180
; %bb.176:
	ds_read2st64_b32 v[5:6], v8 offset1:1
	s_mov_b64 s[12:13], -1
	s_waitcnt lgkmcnt(0)
	v_cmp_ngt_f32_e64 s[8:9], v6, v5
	v_cmp_ngt_f32_e64 s[10:11], 0, v6
	v_cmp_gt_f32_e32 vcc, 0, v6
	s_or_b64 s[10:11], s[10:11], s[8:9]
	s_mov_b64 s[8:9], 0
	s_and_saveexec_b64 s[16:17], s[10:11]
	s_cbranch_execnz .LBB1_224
; %bb.177:
	s_or_b64 exec, exec, s[16:17]
	v_mov_b32_e32 v5, v7
	s_and_saveexec_b64 s[10:11], s[12:13]
	s_cbranch_execnz .LBB1_229
.LBB1_178:
	s_or_b64 exec, exec, s[10:11]
	s_and_b64 exec, exec, s[8:9]
.LBB1_179:
	ds_write_b32 v8, v5 offset:256
.LBB1_180:
	s_or_b64 exec, exec, s[14:15]
	v_cmp_gt_u32_e32 vcc, 32, v0
	s_waitcnt lgkmcnt(0)
	s_barrier
	s_and_saveexec_b64 s[14:15], vcc
	s_cbranch_execz .LBB1_185
; %bb.181:
	ds_read2_b32 v[5:6], v8 offset1:32
	s_mov_b64 s[12:13], -1
	s_waitcnt lgkmcnt(0)
	v_cmp_ngt_f32_e64 s[8:9], v6, v5
	v_cmp_ngt_f32_e64 s[10:11], 0, v6
	v_cmp_gt_f32_e32 vcc, 0, v6
	s_or_b64 s[10:11], s[10:11], s[8:9]
	s_mov_b64 s[8:9], 0
	s_and_saveexec_b64 s[16:17], s[10:11]
	s_cbranch_execnz .LBB1_230
; %bb.182:
	s_or_b64 exec, exec, s[16:17]
	v_mov_b32_e32 v5, v7
	s_and_saveexec_b64 s[10:11], s[12:13]
	s_cbranch_execnz .LBB1_235
.LBB1_183:
	s_or_b64 exec, exec, s[10:11]
	s_and_b64 exec, exec, s[8:9]
.LBB1_184:
	ds_write_b32 v8, v5 offset:128
.LBB1_185:
	s_or_b64 exec, exec, s[14:15]
	v_cmp_gt_u32_e32 vcc, 16, v0
	s_waitcnt lgkmcnt(0)
	s_barrier
	s_and_saveexec_b64 s[14:15], vcc
	s_cbranch_execz .LBB1_190
; %bb.186:
	ds_read2_b32 v[5:6], v8 offset1:16
	s_mov_b64 s[12:13], -1
	s_waitcnt lgkmcnt(0)
	v_cmp_ngt_f32_e64 s[8:9], v6, v5
	v_cmp_ngt_f32_e64 s[10:11], 0, v6
	v_cmp_gt_f32_e32 vcc, 0, v6
	s_or_b64 s[10:11], s[10:11], s[8:9]
	s_mov_b64 s[8:9], 0
	s_and_saveexec_b64 s[16:17], s[10:11]
	s_cbranch_execnz .LBB1_236
; %bb.187:
	s_or_b64 exec, exec, s[16:17]
	v_mov_b32_e32 v5, v7
	s_and_saveexec_b64 s[10:11], s[12:13]
	s_cbranch_execnz .LBB1_241
.LBB1_188:
	s_or_b64 exec, exec, s[10:11]
	s_and_b64 exec, exec, s[8:9]
.LBB1_189:
	ds_write_b32 v8, v5 offset:64
.LBB1_190:
	s_or_b64 exec, exec, s[14:15]
	v_cmp_gt_u32_e32 vcc, 8, v0
	s_waitcnt lgkmcnt(0)
	s_barrier
	s_and_saveexec_b64 s[14:15], vcc
	s_cbranch_execz .LBB1_195
; %bb.191:
	ds_read2_b32 v[5:6], v8 offset1:8
	s_mov_b64 s[12:13], -1
	s_waitcnt lgkmcnt(0)
	v_cmp_ngt_f32_e64 s[8:9], v6, v5
	v_cmp_ngt_f32_e64 s[10:11], 0, v6
	v_cmp_gt_f32_e32 vcc, 0, v6
	s_or_b64 s[10:11], s[10:11], s[8:9]
	s_mov_b64 s[8:9], 0
	s_and_saveexec_b64 s[16:17], s[10:11]
	s_cbranch_execnz .LBB1_242
; %bb.192:
	s_or_b64 exec, exec, s[16:17]
	v_mov_b32_e32 v5, v7
	s_and_saveexec_b64 s[10:11], s[12:13]
	s_cbranch_execnz .LBB1_247
.LBB1_193:
	s_or_b64 exec, exec, s[10:11]
	s_and_b64 exec, exec, s[8:9]
.LBB1_194:
	ds_write_b32 v8, v5 offset:32
.LBB1_195:
	s_or_b64 exec, exec, s[14:15]
	v_cmp_gt_u32_e32 vcc, 4, v0
	s_waitcnt lgkmcnt(0)
	s_barrier
	s_and_saveexec_b64 s[14:15], vcc
	s_cbranch_execz .LBB1_200
; %bb.196:
	ds_read2_b32 v[5:6], v8 offset1:4
	s_mov_b64 s[12:13], -1
	s_waitcnt lgkmcnt(0)
	v_cmp_ngt_f32_e64 s[8:9], v6, v5
	v_cmp_ngt_f32_e64 s[10:11], 0, v6
	v_cmp_gt_f32_e32 vcc, 0, v6
	s_or_b64 s[10:11], s[10:11], s[8:9]
	s_mov_b64 s[8:9], 0
	s_and_saveexec_b64 s[16:17], s[10:11]
	s_cbranch_execnz .LBB1_248
; %bb.197:
	s_or_b64 exec, exec, s[16:17]
	v_mov_b32_e32 v5, v7
	s_and_saveexec_b64 s[10:11], s[12:13]
	s_cbranch_execnz .LBB1_253
.LBB1_198:
	s_or_b64 exec, exec, s[10:11]
	s_and_b64 exec, exec, s[8:9]
.LBB1_199:
	ds_write_b32 v8, v5 offset:16
.LBB1_200:
	s_or_b64 exec, exec, s[14:15]
	v_cmp_gt_u32_e32 vcc, 2, v0
	s_waitcnt lgkmcnt(0)
	s_barrier
	s_and_saveexec_b64 s[14:15], vcc
	s_cbranch_execz .LBB1_205
; %bb.201:
	ds_read2_b32 v[5:6], v8 offset1:2
	s_mov_b64 s[12:13], -1
	s_waitcnt lgkmcnt(0)
	v_cmp_ngt_f32_e64 s[8:9], v6, v5
	v_cmp_ngt_f32_e64 s[10:11], 0, v6
	v_cmp_gt_f32_e32 vcc, 0, v6
	s_or_b64 s[10:11], s[10:11], s[8:9]
	s_mov_b64 s[8:9], 0
	s_and_saveexec_b64 s[16:17], s[10:11]
	s_cbranch_execnz .LBB1_254
; %bb.202:
	s_or_b64 exec, exec, s[16:17]
	v_mov_b32_e32 v5, v7
	s_and_saveexec_b64 s[10:11], s[12:13]
	s_cbranch_execnz .LBB1_259
.LBB1_203:
	s_or_b64 exec, exec, s[10:11]
	s_and_b64 exec, exec, s[8:9]
.LBB1_204:
	ds_write_b32 v8, v5 offset:8
.LBB1_205:
	s_or_b64 exec, exec, s[14:15]
	v_cmp_eq_u32_e32 vcc, 0, v0
	s_waitcnt lgkmcnt(0)
	s_barrier
	s_and_saveexec_b64 s[16:17], vcc
	s_cbranch_execz .LBB1_210
; %bb.206:
	v_mov_b32_e32 v5, 0
	ds_read_b32 v5, v5 offset:4
	ds_read_b32 v6, v8
	s_mov_b64 s[14:15], -1
	s_waitcnt lgkmcnt(1)
	v_cmp_ngt_f32_e64 s[12:13], 0, v5
	s_waitcnt lgkmcnt(0)
	v_cmp_ngt_f32_e64 s[10:11], v5, v6
	v_cmp_gt_f32_e64 s[8:9], 0, v5
	s_or_b64 s[12:13], s[12:13], s[10:11]
	s_mov_b64 s[10:11], 0
	s_and_saveexec_b64 s[18:19], s[12:13]
	s_cbranch_execnz .LBB1_260
; %bb.207:
	s_or_b64 exec, exec, s[18:19]
	s_and_saveexec_b64 s[8:9], s[14:15]
	s_cbranch_execnz .LBB1_265
.LBB1_208:
	s_or_b64 exec, exec, s[8:9]
	s_and_b64 exec, exec, s[10:11]
.LBB1_209:
	v_mov_b32_e32 v5, 0
	ds_write_b32 v5, v7 offset:4
.LBB1_210:
	s_or_b64 exec, exec, s[16:17]
	s_load_dwordx4 s[8:11], s[4:5], 0x20
	s_waitcnt lgkmcnt(0)
	s_barrier
	s_and_saveexec_b64 s[4:5], vcc
	s_cbranch_execz .LBB1_215
; %bb.211:
	v_mov_b32_e32 v8, 0
	ds_read2_b32 v[6:7], v8 offset1:1
	s_mov_b32 s7, 0
	s_lshl_b64 s[12:13], s[6:7], 2
	s_movk_i32 s7, 0x7f
	s_add_u32 s8, s8, s12
	s_waitcnt lgkmcnt(0)
	v_cvt_i32_f32_e32 v5, v7
	s_addc_u32 s9, s9, s13
	global_store_dword v8, v6, s[8:9]
	v_cmp_lt_u32_e32 vcc, s7, v5
	s_cbranch_vccnz .LBB1_214
; %bb.212:
	s_mov_b32 s14, 1
	s_mov_b32 s7, 0x3f317218
	;; [unrolled: 1-line block ×3, first 2 shown]
	v_mov_b32_e32 v6, 0x7f800000
	s_mov_b32 s9, 0x42b17218
	v_mov_b32_e32 v7, 0x37000000
	s_mov_b32 s12, 0x3fb8aa3b
	s_mov_b32 s13, 0xc2ce8ed0
	s_movk_i32 s15, 0x204
	s_movk_i32 s16, 0x80
.LBB1_213:                              ; =>This Inner Loop Header: Depth=1
	v_cvt_f32_u32_e32 v8, s14
	v_lshlrev_b32_e32 v5, 2, v5
	v_add_u32_e32 v5, 0, v5
	s_add_i32 s17, s14, 1
	v_mul_f32_e32 v9, 0x3f317218, v8
	v_fma_f32 v10, v8, s7, -v9
	v_fmac_f32_e32 v10, 0xb102e308, v8
	v_add_f32_e32 v8, v9, v10
	v_cmp_neq_f32_e32 vcc, s8, v9
	v_sub_f32_e32 v9, v8, v9
	v_cndmask_b32_e32 v8, v6, v8, vcc
	v_cmp_eq_f32_e32 vcc, s9, v8
	v_sub_f32_e32 v9, v10, v9
	v_cndmask_b32_e32 v10, 0, v7, vcc
	v_cmp_neq_f32_e64 vcc, |v8|, s8
	v_cndmask_b32_e32 v9, 0, v9, vcc
	v_sub_f32_e32 v8, v8, v10
	v_add_f32_e32 v9, v10, v9
	v_mul_f32_e32 v10, 0x3fb8aa3b, v8
	v_fma_f32 v11, v8, s12, -v10
	v_rndne_f32_e32 v12, v10
	v_fmac_f32_e32 v11, 0x32a5705f, v8
	v_sub_f32_e32 v10, v10, v12
	v_add_f32_e32 v10, v10, v11
	v_cvt_i32_f32_e32 v12, v12
	v_exp_f32_e32 v10, v10
	v_cmp_ngt_f32_e32 vcc, s13, v8
	s_cmp_lt_u32 s14, 6
	s_cselect_b64 s[18:19], -1, 0
	v_ldexp_f32 v10, v10, v12
	v_cndmask_b32_e32 v10, 0, v10, vcc
	v_cmp_nlt_f32_e32 vcc, s9, v8
	v_cndmask_b32_e32 v8, v6, v10, vcc
	v_fma_f32 v9, v8, v9, v8
	v_cmp_class_f32_e64 vcc, v8, s15
	v_cndmask_b32_e32 v8, v9, v8, vcc
	v_cvt_i32_f32_e64 v8, |v8|
	s_mov_b32 s14, s17
	v_lshlrev_b32_e32 v8, 2, v8
	v_add_u32_e32 v5, v5, v8
	ds_read_b32 v5, v5
	s_waitcnt lgkmcnt(0)
	v_cvt_i32_f32_e32 v5, v5
	v_cmp_gt_u32_e32 vcc, s16, v5
	s_and_b64 s[18:19], s[18:19], vcc
	s_and_b64 vcc, exec, s[18:19]
	s_cbranch_vccnz .LBB1_213
.LBB1_214:
	v_cvt_f32_i32_e32 v5, v5
	v_mov_b32_e32 v6, 0
	ds_write_b32 v6, v5
.LBB1_215:
	s_or_b64 exec, exec, s[4:5]
	v_mov_b32_e32 v5, 0
	s_waitcnt vmcnt(0) lgkmcnt(0)
	s_barrier
	ds_read_b32 v6, v5
	s_mov_b32 s5, 0
	s_waitcnt lgkmcnt(0)
	v_cvt_i32_f32_e32 v6, v6
	v_cmp_eq_u32_e32 vcc, v0, v6
	s_and_saveexec_b64 s[8:9], vcc
	s_cbranch_execz .LBB1_217
; %bb.216:
	s_lshl_b32 s4, s6, 2
	s_lshl_b64 s[4:5], s[4:5], 2
	s_add_u32 s4, s10, s4
	s_addc_u32 s5, s11, s5
	global_store_dwordx4 v5, v[1:4], s[4:5]
.LBB1_217:
	s_endpgm
.LBB1_218:
	v_cmp_nlt_f32_e64 s[10:11], v6, v5
	v_cmp_ngt_f32_e64 s[12:13], 0, v5
	v_cmp_gt_f32_e64 s[8:9], 0, v5
	s_or_b64 s[18:19], s[10:11], s[12:13]
	s_mov_b64 s[10:11], 0
	s_mov_b64 s[20:21], -1
	s_and_saveexec_b64 s[12:13], s[18:19]
	s_cbranch_execz .LBB1_222
; %bb.219:
	v_cmp_nlt_f32_e64 s[10:11], 0, v5
	s_xor_b64 s[20:21], vcc, -1
	s_mov_b64 s[18:19], -1
	s_or_b64 s[22:23], s[20:21], s[10:11]
	s_mov_b64 s[10:11], 0
	s_and_saveexec_b64 s[20:21], s[22:23]
; %bb.220:
	v_cmp_lt_f32_e32 vcc, 0, v6
	s_and_b64 s[8:9], vcc, s[8:9]
	s_and_b64 s[10:11], s[8:9], exec
	s_xor_b64 s[18:19], exec, -1
; %bb.221:
	s_or_b64 exec, exec, s[20:21]
	s_orn2_b64 s[20:21], s[10:11], exec
	s_and_b64 s[10:11], s[18:19], exec
.LBB1_222:
	s_or_b64 exec, exec, s[12:13]
	s_and_b64 s[8:9], s[20:21], exec
	s_orn2_b64 s[12:13], s[10:11], exec
	s_or_b64 exec, exec, s[16:17]
	v_mov_b32_e32 v5, v7
	s_and_saveexec_b64 s[10:11], s[12:13]
	s_cbranch_execz .LBB1_173
.LBB1_223:
	v_or_b32_e32 v5, 0x80, v0
	v_cvt_f32_u32_e32 v5, v5
	s_or_b64 s[8:9], s[8:9], exec
	ds_write_b32 v8, v6
	s_or_b64 exec, exec, s[10:11]
	s_and_b64 exec, exec, s[8:9]
	s_cbranch_execnz .LBB1_174
	s_branch .LBB1_175
.LBB1_224:
	v_cmp_nlt_f32_e64 s[10:11], v6, v5
	v_cmp_ngt_f32_e64 s[12:13], 0, v5
	v_cmp_gt_f32_e64 s[8:9], 0, v5
	s_or_b64 s[18:19], s[10:11], s[12:13]
	s_mov_b64 s[10:11], 0
	s_mov_b64 s[20:21], -1
	s_and_saveexec_b64 s[12:13], s[18:19]
	s_cbranch_execz .LBB1_228
; %bb.225:
	v_cmp_nlt_f32_e64 s[10:11], 0, v5
	s_xor_b64 s[20:21], vcc, -1
	s_mov_b64 s[18:19], -1
	s_or_b64 s[22:23], s[20:21], s[10:11]
	s_mov_b64 s[10:11], 0
	s_and_saveexec_b64 s[20:21], s[22:23]
; %bb.226:
	v_cmp_lt_f32_e32 vcc, 0, v6
	s_and_b64 s[8:9], vcc, s[8:9]
	s_and_b64 s[10:11], s[8:9], exec
	s_xor_b64 s[18:19], exec, -1
; %bb.227:
	s_or_b64 exec, exec, s[20:21]
	s_orn2_b64 s[20:21], s[10:11], exec
	s_and_b64 s[10:11], s[18:19], exec
.LBB1_228:
	s_or_b64 exec, exec, s[12:13]
	s_and_b64 s[8:9], s[20:21], exec
	s_orn2_b64 s[12:13], s[10:11], exec
	s_or_b64 exec, exec, s[16:17]
	v_mov_b32_e32 v5, v7
	s_and_saveexec_b64 s[10:11], s[12:13]
	s_cbranch_execz .LBB1_178
.LBB1_229:
	v_or_b32_e32 v5, 64, v0
	v_cvt_f32_u32_e32 v5, v5
	s_or_b64 s[8:9], s[8:9], exec
	ds_write_b32 v8, v6
	s_or_b64 exec, exec, s[10:11]
	s_and_b64 exec, exec, s[8:9]
	s_cbranch_execnz .LBB1_179
	s_branch .LBB1_180
.LBB1_230:
	v_cmp_nlt_f32_e64 s[10:11], v6, v5
	v_cmp_ngt_f32_e64 s[12:13], 0, v5
	v_cmp_gt_f32_e64 s[8:9], 0, v5
	s_or_b64 s[18:19], s[10:11], s[12:13]
	s_mov_b64 s[10:11], 0
	s_mov_b64 s[20:21], -1
	s_and_saveexec_b64 s[12:13], s[18:19]
	s_cbranch_execz .LBB1_234
; %bb.231:
	v_cmp_nlt_f32_e64 s[10:11], 0, v5
	s_xor_b64 s[20:21], vcc, -1
	s_mov_b64 s[18:19], -1
	s_or_b64 s[22:23], s[20:21], s[10:11]
	s_mov_b64 s[10:11], 0
	s_and_saveexec_b64 s[20:21], s[22:23]
; %bb.232:
	v_cmp_lt_f32_e32 vcc, 0, v6
	s_and_b64 s[8:9], vcc, s[8:9]
	s_and_b64 s[10:11], s[8:9], exec
	s_xor_b64 s[18:19], exec, -1
; %bb.233:
	s_or_b64 exec, exec, s[20:21]
	s_orn2_b64 s[20:21], s[10:11], exec
	s_and_b64 s[10:11], s[18:19], exec
.LBB1_234:
	s_or_b64 exec, exec, s[12:13]
	s_and_b64 s[8:9], s[20:21], exec
	s_orn2_b64 s[12:13], s[10:11], exec
	s_or_b64 exec, exec, s[16:17]
	v_mov_b32_e32 v5, v7
	s_and_saveexec_b64 s[10:11], s[12:13]
	s_cbranch_execz .LBB1_183
.LBB1_235:
	v_or_b32_e32 v5, 32, v0
	v_cvt_f32_u32_e32 v5, v5
	s_or_b64 s[8:9], s[8:9], exec
	ds_write_b32 v8, v6
	s_or_b64 exec, exec, s[10:11]
	s_and_b64 exec, exec, s[8:9]
	s_cbranch_execnz .LBB1_184
	s_branch .LBB1_185
.LBB1_236:
	v_cmp_nlt_f32_e64 s[10:11], v6, v5
	v_cmp_ngt_f32_e64 s[12:13], 0, v5
	v_cmp_gt_f32_e64 s[8:9], 0, v5
	s_or_b64 s[18:19], s[10:11], s[12:13]
	s_mov_b64 s[10:11], 0
	s_mov_b64 s[20:21], -1
	s_and_saveexec_b64 s[12:13], s[18:19]
	s_cbranch_execz .LBB1_240
; %bb.237:
	v_cmp_nlt_f32_e64 s[10:11], 0, v5
	s_xor_b64 s[20:21], vcc, -1
	s_mov_b64 s[18:19], -1
	s_or_b64 s[22:23], s[20:21], s[10:11]
	s_mov_b64 s[10:11], 0
	s_and_saveexec_b64 s[20:21], s[22:23]
; %bb.238:
	v_cmp_lt_f32_e32 vcc, 0, v6
	s_and_b64 s[8:9], vcc, s[8:9]
	s_and_b64 s[10:11], s[8:9], exec
	s_xor_b64 s[18:19], exec, -1
; %bb.239:
	s_or_b64 exec, exec, s[20:21]
	s_orn2_b64 s[20:21], s[10:11], exec
	s_and_b64 s[10:11], s[18:19], exec
.LBB1_240:
	s_or_b64 exec, exec, s[12:13]
	s_and_b64 s[8:9], s[20:21], exec
	s_orn2_b64 s[12:13], s[10:11], exec
	s_or_b64 exec, exec, s[16:17]
	v_mov_b32_e32 v5, v7
	s_and_saveexec_b64 s[10:11], s[12:13]
	s_cbranch_execz .LBB1_188
.LBB1_241:
	v_or_b32_e32 v5, 16, v0
	v_cvt_f32_u32_e32 v5, v5
	s_or_b64 s[8:9], s[8:9], exec
	ds_write_b32 v8, v6
	s_or_b64 exec, exec, s[10:11]
	s_and_b64 exec, exec, s[8:9]
	s_cbranch_execnz .LBB1_189
	s_branch .LBB1_190
.LBB1_242:
	v_cmp_nlt_f32_e64 s[10:11], v6, v5
	v_cmp_ngt_f32_e64 s[12:13], 0, v5
	v_cmp_gt_f32_e64 s[8:9], 0, v5
	s_or_b64 s[18:19], s[10:11], s[12:13]
	s_mov_b64 s[10:11], 0
	s_mov_b64 s[20:21], -1
	s_and_saveexec_b64 s[12:13], s[18:19]
	s_cbranch_execz .LBB1_246
; %bb.243:
	v_cmp_nlt_f32_e64 s[10:11], 0, v5
	s_xor_b64 s[20:21], vcc, -1
	s_mov_b64 s[18:19], -1
	s_or_b64 s[22:23], s[20:21], s[10:11]
	s_mov_b64 s[10:11], 0
	s_and_saveexec_b64 s[20:21], s[22:23]
; %bb.244:
	v_cmp_lt_f32_e32 vcc, 0, v6
	s_and_b64 s[8:9], vcc, s[8:9]
	s_and_b64 s[10:11], s[8:9], exec
	s_xor_b64 s[18:19], exec, -1
; %bb.245:
	s_or_b64 exec, exec, s[20:21]
	s_orn2_b64 s[20:21], s[10:11], exec
	s_and_b64 s[10:11], s[18:19], exec
.LBB1_246:
	s_or_b64 exec, exec, s[12:13]
	s_and_b64 s[8:9], s[20:21], exec
	s_orn2_b64 s[12:13], s[10:11], exec
	s_or_b64 exec, exec, s[16:17]
	v_mov_b32_e32 v5, v7
	s_and_saveexec_b64 s[10:11], s[12:13]
	s_cbranch_execz .LBB1_193
.LBB1_247:
	v_or_b32_e32 v5, 8, v0
	v_cvt_f32_u32_e32 v5, v5
	s_or_b64 s[8:9], s[8:9], exec
	ds_write_b32 v8, v6
	s_or_b64 exec, exec, s[10:11]
	s_and_b64 exec, exec, s[8:9]
	s_cbranch_execnz .LBB1_194
	s_branch .LBB1_195
.LBB1_248:
	v_cmp_nlt_f32_e64 s[10:11], v6, v5
	v_cmp_ngt_f32_e64 s[12:13], 0, v5
	v_cmp_gt_f32_e64 s[8:9], 0, v5
	s_or_b64 s[18:19], s[10:11], s[12:13]
	s_mov_b64 s[10:11], 0
	s_mov_b64 s[20:21], -1
	s_and_saveexec_b64 s[12:13], s[18:19]
	s_cbranch_execz .LBB1_252
; %bb.249:
	v_cmp_nlt_f32_e64 s[10:11], 0, v5
	s_xor_b64 s[20:21], vcc, -1
	s_mov_b64 s[18:19], -1
	s_or_b64 s[22:23], s[20:21], s[10:11]
	s_mov_b64 s[10:11], 0
	s_and_saveexec_b64 s[20:21], s[22:23]
; %bb.250:
	v_cmp_lt_f32_e32 vcc, 0, v6
	s_and_b64 s[8:9], vcc, s[8:9]
	s_and_b64 s[10:11], s[8:9], exec
	s_xor_b64 s[18:19], exec, -1
; %bb.251:
	s_or_b64 exec, exec, s[20:21]
	s_orn2_b64 s[20:21], s[10:11], exec
	s_and_b64 s[10:11], s[18:19], exec
.LBB1_252:
	s_or_b64 exec, exec, s[12:13]
	s_and_b64 s[8:9], s[20:21], exec
	s_orn2_b64 s[12:13], s[10:11], exec
	s_or_b64 exec, exec, s[16:17]
	v_mov_b32_e32 v5, v7
	s_and_saveexec_b64 s[10:11], s[12:13]
	s_cbranch_execz .LBB1_198
.LBB1_253:
	v_or_b32_e32 v5, 4, v0
	v_cvt_f32_u32_e32 v5, v5
	s_or_b64 s[8:9], s[8:9], exec
	ds_write_b32 v8, v6
	s_or_b64 exec, exec, s[10:11]
	s_and_b64 exec, exec, s[8:9]
	s_cbranch_execnz .LBB1_199
	s_branch .LBB1_200
.LBB1_254:
	v_cmp_nlt_f32_e64 s[10:11], v6, v5
	v_cmp_ngt_f32_e64 s[12:13], 0, v5
	v_cmp_gt_f32_e64 s[8:9], 0, v5
	s_or_b64 s[18:19], s[10:11], s[12:13]
	s_mov_b64 s[10:11], 0
	s_mov_b64 s[20:21], -1
	s_and_saveexec_b64 s[12:13], s[18:19]
	s_cbranch_execz .LBB1_258
; %bb.255:
	v_cmp_nlt_f32_e64 s[10:11], 0, v5
	s_xor_b64 s[20:21], vcc, -1
	s_mov_b64 s[18:19], -1
	s_or_b64 s[22:23], s[20:21], s[10:11]
	s_mov_b64 s[10:11], 0
	s_and_saveexec_b64 s[20:21], s[22:23]
; %bb.256:
	v_cmp_lt_f32_e32 vcc, 0, v6
	s_and_b64 s[8:9], vcc, s[8:9]
	s_and_b64 s[10:11], s[8:9], exec
	s_xor_b64 s[18:19], exec, -1
; %bb.257:
	s_or_b64 exec, exec, s[20:21]
	s_orn2_b64 s[20:21], s[10:11], exec
	s_and_b64 s[10:11], s[18:19], exec
.LBB1_258:
	s_or_b64 exec, exec, s[12:13]
	s_and_b64 s[8:9], s[20:21], exec
	s_orn2_b64 s[12:13], s[10:11], exec
	s_or_b64 exec, exec, s[16:17]
	v_mov_b32_e32 v5, v7
	s_and_saveexec_b64 s[10:11], s[12:13]
	s_cbranch_execz .LBB1_203
.LBB1_259:
	v_or_b32_e32 v5, 2, v0
	v_cvt_f32_u32_e32 v5, v5
	s_or_b64 s[8:9], s[8:9], exec
	ds_write_b32 v8, v6
	s_or_b64 exec, exec, s[10:11]
	s_and_b64 exec, exec, s[8:9]
	s_cbranch_execnz .LBB1_204
	s_branch .LBB1_205
.LBB1_260:
	v_cmp_nlt_f32_e64 s[12:13], v5, v6
	v_cmp_ngt_f32_e64 s[14:15], 0, v6
	v_cmp_gt_f32_e64 s[10:11], 0, v6
	s_or_b64 s[20:21], s[12:13], s[14:15]
	s_mov_b64 s[12:13], 0
	s_mov_b64 s[22:23], -1
	s_and_saveexec_b64 s[14:15], s[20:21]
	s_cbranch_execz .LBB1_264
; %bb.261:
	v_cmp_nlt_f32_e64 s[12:13], 0, v6
	s_xor_b64 s[8:9], s[8:9], -1
	s_mov_b64 s[20:21], -1
	s_or_b64 s[22:23], s[8:9], s[12:13]
	s_mov_b64 s[8:9], 0
	s_and_saveexec_b64 s[12:13], s[22:23]
; %bb.262:
	v_cmp_lt_f32_e64 s[8:9], 0, v5
	s_and_b64 s[8:9], s[8:9], s[10:11]
	s_and_b64 s[8:9], s[8:9], exec
	s_xor_b64 s[20:21], exec, -1
; %bb.263:
	s_or_b64 exec, exec, s[12:13]
	s_orn2_b64 s[22:23], s[8:9], exec
	s_and_b64 s[12:13], s[20:21], exec
.LBB1_264:
	s_or_b64 exec, exec, s[14:15]
	s_and_b64 s[10:11], s[22:23], exec
	s_orn2_b64 s[14:15], s[12:13], exec
	s_or_b64 exec, exec, s[18:19]
	s_and_saveexec_b64 s[8:9], s[14:15]
	s_cbranch_execz .LBB1_208
.LBB1_265:
	v_mov_b32_e32 v7, 1.0
	s_or_b64 s[10:11], s[10:11], exec
	ds_write_b32 v8, v5
	s_or_b64 exec, exec, s[8:9]
	s_and_b64 exec, exec, s[10:11]
	s_cbranch_execnz .LBB1_209
	s_branch .LBB1_210
	.section	.rodata,"a",@progbits
	.p2align	6, 0x0
	.amdhsa_kernel _Z13computeKerneliiPKfPKbiiPfPi
		.amdhsa_group_segment_fixed_size 0
		.amdhsa_private_segment_fixed_size 224
		.amdhsa_kernarg_size 48
		.amdhsa_user_sgpr_count 6
		.amdhsa_user_sgpr_private_segment_buffer 1
		.amdhsa_user_sgpr_dispatch_ptr 0
		.amdhsa_user_sgpr_queue_ptr 0
		.amdhsa_user_sgpr_kernarg_segment_ptr 1
		.amdhsa_user_sgpr_dispatch_id 0
		.amdhsa_user_sgpr_flat_scratch_init 0
		.amdhsa_user_sgpr_private_segment_size 0
		.amdhsa_uses_dynamic_stack 0
		.amdhsa_system_sgpr_private_segment_wavefront_offset 1
		.amdhsa_system_sgpr_workgroup_id_x 1
		.amdhsa_system_sgpr_workgroup_id_y 0
		.amdhsa_system_sgpr_workgroup_id_z 0
		.amdhsa_system_sgpr_workgroup_info 0
		.amdhsa_system_vgpr_workitem_id 0
		.amdhsa_next_free_vgpr 27
		.amdhsa_next_free_sgpr 39
		.amdhsa_reserve_vcc 1
		.amdhsa_reserve_flat_scratch 0
		.amdhsa_float_round_mode_32 0
		.amdhsa_float_round_mode_16_64 0
		.amdhsa_float_denorm_mode_32 3
		.amdhsa_float_denorm_mode_16_64 3
		.amdhsa_dx10_clamp 1
		.amdhsa_ieee_mode 1
		.amdhsa_fp16_overflow 0
		.amdhsa_exception_fp_ieee_invalid_op 0
		.amdhsa_exception_fp_denorm_src 0
		.amdhsa_exception_fp_ieee_div_zero 0
		.amdhsa_exception_fp_ieee_overflow 0
		.amdhsa_exception_fp_ieee_underflow 0
		.amdhsa_exception_fp_ieee_inexact 0
		.amdhsa_exception_int_div_zero 0
	.end_amdhsa_kernel
	.text
.Lfunc_end1:
	.size	_Z13computeKerneliiPKfPKbiiPfPi, .Lfunc_end1-_Z13computeKerneliiPKfPKbiiPfPi
                                        ; -- End function
	.set _Z13computeKerneliiPKfPKbiiPfPi.num_vgpr, 27
	.set _Z13computeKerneliiPKfPKbiiPfPi.num_agpr, 0
	.set _Z13computeKerneliiPKfPKbiiPfPi.numbered_sgpr, 39
	.set _Z13computeKerneliiPKfPKbiiPfPi.num_named_barrier, 0
	.set _Z13computeKerneliiPKfPKbiiPfPi.private_seg_size, 224
	.set _Z13computeKerneliiPKfPKbiiPfPi.uses_vcc, 1
	.set _Z13computeKerneliiPKfPKbiiPfPi.uses_flat_scratch, 0
	.set _Z13computeKerneliiPKfPKbiiPfPi.has_dyn_sized_stack, 0
	.set _Z13computeKerneliiPKfPKbiiPfPi.has_recursion, 0
	.set _Z13computeKerneliiPKfPKbiiPfPi.has_indirect_call, 0
	.section	.AMDGPU.csdata,"",@progbits
; Kernel info:
; codeLenInByte = 7904
; TotalNumSgprs: 43
; NumVgprs: 27
; ScratchSize: 224
; MemoryBound: 0
; FloatMode: 240
; IeeeMode: 1
; LDSByteSize: 0 bytes/workgroup (compile time only)
; SGPRBlocks: 5
; VGPRBlocks: 6
; NumSGPRsForWavesPerEU: 43
; NumVGPRsForWavesPerEU: 27
; Occupancy: 9
; WaveLimiterHint : 0
; COMPUTE_PGM_RSRC2:SCRATCH_EN: 1
; COMPUTE_PGM_RSRC2:USER_SGPR: 6
; COMPUTE_PGM_RSRC2:TRAP_HANDLER: 0
; COMPUTE_PGM_RSRC2:TGID_X_EN: 1
; COMPUTE_PGM_RSRC2:TGID_Y_EN: 0
; COMPUTE_PGM_RSRC2:TGID_Z_EN: 0
; COMPUTE_PGM_RSRC2:TIDIG_COMP_CNT: 0
	.section	.AMDGPU.gpr_maximums,"",@progbits
	.set amdgpu.max_num_vgpr, 0
	.set amdgpu.max_num_agpr, 0
	.set amdgpu.max_num_sgpr, 0
	.section	.AMDGPU.csdata,"",@progbits
	.type	__const._Z13computeKerneliiPKfPKbiiPfPi.parent,@object ; @__const._Z13computeKerneliiPKfPKbiiPfPi.parent
	.section	.rodata,"a",@progbits
	.p2align	4, 0x0
__const._Z13computeKerneliiPKfPKbiiPfPi.parent:
	.long	4294967295                      ; 0xffffffff
	.long	0                               ; 0x0
	.long	0                               ; 0x0
	;; [unrolled: 1-line block ×4, first 2 shown]
	.size	__const._Z13computeKerneliiPKfPKbiiPfPi.parent, 20

	.type	__hip_cuid_efffc0ef8cb24335,@object ; @__hip_cuid_efffc0ef8cb24335
	.section	.bss,"aw",@nobits
	.globl	__hip_cuid_efffc0ef8cb24335
__hip_cuid_efffc0ef8cb24335:
	.byte	0                               ; 0x0
	.size	__hip_cuid_efffc0ef8cb24335, 1

	.ident	"AMD clang version 22.0.0git (https://github.com/RadeonOpenCompute/llvm-project roc-7.2.4 26084 f58b06dce1f9c15707c5f808fd002e18c2accf7e)"
	.section	".note.GNU-stack","",@progbits
	.addrsig
	.addrsig_sym __hip_cuid_efffc0ef8cb24335
	.amdgpu_metadata
---
amdhsa.kernels:
  - .args:
      - .offset:         0
        .size:           4
        .value_kind:     by_value
      - .address_space:  global
        .offset:         8
        .size:           8
        .value_kind:     global_buffer
      - .address_space:  global
        .offset:         16
        .size:           8
        .value_kind:     global_buffer
      - .address_space:  global
        .offset:         24
        .size:           8
        .value_kind:     global_buffer
    .group_segment_fixed_size: 0
    .kernarg_segment_align: 8
    .kernarg_segment_size: 32
    .language:       OpenCL C
    .language_version:
      - 2
      - 0
    .max_flat_workgroup_size: 1024
    .name:           _Z14genScoreKerneliPfPKiPKf
    .private_segment_fixed_size: 192
    .sgpr_count:     60
    .sgpr_spill_count: 0
    .symbol:         _Z14genScoreKerneliPfPKiPKf.kd
    .uniform_work_group_size: 1
    .uses_dynamic_stack: false
    .vgpr_count:     64
    .vgpr_spill_count: 0
    .wavefront_size: 64
  - .args:
      - .offset:         0
        .size:           4
        .value_kind:     by_value
      - .offset:         4
        .size:           4
        .value_kind:     by_value
      - .address_space:  global
        .offset:         8
        .size:           8
        .value_kind:     global_buffer
      - .address_space:  global
        .offset:         16
        .size:           8
        .value_kind:     global_buffer
      - .offset:         24
        .size:           4
        .value_kind:     by_value
      - .offset:         28
        .size:           4
        .value_kind:     by_value
      - .address_space:  global
        .offset:         32
        .size:           8
        .value_kind:     global_buffer
      - .address_space:  global
        .offset:         40
        .size:           8
        .value_kind:     global_buffer
    .group_segment_fixed_size: 0
    .kernarg_segment_align: 8
    .kernarg_segment_size: 48
    .language:       OpenCL C
    .language_version:
      - 2
      - 0
    .max_flat_workgroup_size: 1024
    .name:           _Z13computeKerneliiPKfPKbiiPfPi
    .private_segment_fixed_size: 224
    .sgpr_count:     43
    .sgpr_spill_count: 0
    .symbol:         _Z13computeKerneliiPKfPKbiiPfPi.kd
    .uniform_work_group_size: 1
    .uses_dynamic_stack: false
    .vgpr_count:     27
    .vgpr_spill_count: 0
    .wavefront_size: 64
amdhsa.target:   amdgcn-amd-amdhsa--gfx906
amdhsa.version:
  - 1
  - 2
...

	.end_amdgpu_metadata
